;; amdgpu-corpus repo=ROCm/rocBLAS kind=compiled arch=gfx906 opt=O3
	.amdgcn_target "amdgcn-amd-amdhsa--gfx906"
	.amdhsa_code_object_version 6
	.section	.text._ZL36rocblas_check_numerics_vector_kernelILi256EPfEviT0_lllP24rocblas_check_numerics_s,"axG",@progbits,_ZL36rocblas_check_numerics_vector_kernelILi256EPfEviT0_lllP24rocblas_check_numerics_s,comdat
	.globl	_ZL36rocblas_check_numerics_vector_kernelILi256EPfEviT0_lllP24rocblas_check_numerics_s ; -- Begin function _ZL36rocblas_check_numerics_vector_kernelILi256EPfEviT0_lllP24rocblas_check_numerics_s
	.p2align	8
	.type	_ZL36rocblas_check_numerics_vector_kernelILi256EPfEviT0_lllP24rocblas_check_numerics_s,@function
_ZL36rocblas_check_numerics_vector_kernelILi256EPfEviT0_lllP24rocblas_check_numerics_s: ; @_ZL36rocblas_check_numerics_vector_kernelILi256EPfEviT0_lllP24rocblas_check_numerics_s
; %bb.0:
	s_load_dword s0, s[4:5], 0x0
	s_load_dword s2, s[4:5], 0x3c
	v_mov_b32_e32 v1, 0
	s_waitcnt lgkmcnt(0)
	s_ashr_i32 s1, s0, 31
	s_and_b32 s2, s2, 0xffff
	s_mul_i32 s6, s6, s2
	v_add_u32_e32 v0, s6, v0
	v_cmp_gt_i64_e32 vcc, s[0:1], v[0:1]
	s_and_saveexec_b64 s[0:1], vcc
	s_cbranch_execz .LBB0_10
; %bb.1:
	s_load_dwordx8 s[8:15], s[4:5], 0x8
	s_load_dwordx2 s[2:3], s[4:5], 0x28
	s_waitcnt lgkmcnt(0)
	s_mul_i32 s1, s15, s7
	s_mul_hi_u32 s4, s14, s7
	s_add_i32 s1, s4, s1
	v_mad_u64_u32 v[2:3], s[4:5], s12, v0, 0
	s_mul_i32 s0, s14, s7
	s_lshl_b64 s[0:1], s[0:1], 2
	s_add_u32 s4, s8, s0
	s_addc_u32 s5, s9, s1
	v_mad_u64_u32 v[3:4], s[0:1], s13, v0, v[3:4]
	s_lshl_b64 s[0:1], s[10:11], 2
	s_add_u32 s0, s4, s0
	v_lshlrev_b64 v[2:3], 2, v[2:3]
	s_addc_u32 s1, s5, s1
	global_load_ubyte v5, v1, s[2:3] offset:1
	v_mov_b32_e32 v4, s1
	v_add_co_u32_e32 v0, vcc, s0, v2
	v_addc_co_u32_e32 v1, vcc, v4, v3, vcc
	global_load_dword v0, v[0:1], off
	s_waitcnt vmcnt(1)
	v_readfirstlane_b32 s0, v5
	s_bitcmp1_b32 s0, 0
	s_cselect_b64 s[0:1], -1, 0
	s_xor_b64 s[0:1], s[0:1], -1
	s_waitcnt vmcnt(0)
	v_cmp_eq_f32_e32 vcc, 0, v0
	s_and_b64 s[4:5], s[0:1], vcc
	s_and_saveexec_b64 s[0:1], s[4:5]
	s_cbranch_execz .LBB0_3
; %bb.2:
	v_mov_b32_e32 v1, 0
	v_mov_b32_e32 v2, 1
	global_store_byte v1, v2, s[2:3] offset:1
.LBB0_3:
	s_or_b64 exec, exec, s[0:1]
	v_mov_b32_e32 v1, 0
	global_load_ubyte v2, v1, s[2:3]
	v_cmp_u_f32_e32 vcc, v0, v0
	s_waitcnt vmcnt(0)
	v_readfirstlane_b32 s0, v2
	s_bitcmp1_b32 s0, 0
	s_cselect_b64 s[0:1], -1, 0
	s_xor_b64 s[0:1], s[0:1], -1
	s_and_b64 s[4:5], s[0:1], vcc
	s_and_saveexec_b64 s[0:1], s[4:5]
	s_cbranch_execz .LBB0_5
; %bb.4:
	v_mov_b32_e32 v2, 1
	global_store_byte v1, v2, s[2:3]
.LBB0_5:
	s_or_b64 exec, exec, s[0:1]
	global_load_ubyte v1, v1, s[2:3] offset:2
	s_movk_i32 s4, 0x204
	v_cmp_class_f32_e64 s[4:5], v0, s4
	s_waitcnt vmcnt(0)
	v_readfirstlane_b32 s0, v1
	s_bitcmp1_b32 s0, 0
	s_cselect_b64 s[0:1], -1, 0
	s_xor_b64 s[0:1], s[0:1], -1
	s_and_b64 s[4:5], s[0:1], s[4:5]
	s_and_saveexec_b64 s[0:1], s[4:5]
	s_cbranch_execz .LBB0_7
; %bb.6:
	v_mov_b32_e32 v1, 0
	v_mov_b32_e32 v2, 1
	global_store_byte v1, v2, s[2:3] offset:2
.LBB0_7:
	s_or_b64 exec, exec, s[0:1]
	v_mov_b32_e32 v1, 0
	global_load_ubyte v1, v1, s[2:3] offset:3
	s_waitcnt vmcnt(0)
	v_and_b32_e32 v1, 1, v1
	v_cmp_eq_u32_e32 vcc, 1, v1
	s_cbranch_vccnz .LBB0_10
; %bb.8:
	v_cmp_gt_f32_e32 vcc, 0, v0
	v_cndmask_b32_e64 v0, v0, -v0, vcc
	s_mov_b32 s0, 0x800000
	v_cmp_le_f32_e32 vcc, 1, v0
	v_cmp_gt_f32_e64 s[0:1], s0, v0
	s_and_b64 s[0:1], vcc, s[0:1]
	s_and_b64 exec, exec, s[0:1]
	s_cbranch_execz .LBB0_10
; %bb.9:
	v_mov_b32_e32 v0, 0
	v_mov_b32_e32 v1, 1
	global_store_byte v0, v1, s[2:3] offset:3
.LBB0_10:
	s_endpgm
	.section	.rodata,"a",@progbits
	.p2align	6, 0x0
	.amdhsa_kernel _ZL36rocblas_check_numerics_vector_kernelILi256EPfEviT0_lllP24rocblas_check_numerics_s
		.amdhsa_group_segment_fixed_size 0
		.amdhsa_private_segment_fixed_size 0
		.amdhsa_kernarg_size 304
		.amdhsa_user_sgpr_count 6
		.amdhsa_user_sgpr_private_segment_buffer 1
		.amdhsa_user_sgpr_dispatch_ptr 0
		.amdhsa_user_sgpr_queue_ptr 0
		.amdhsa_user_sgpr_kernarg_segment_ptr 1
		.amdhsa_user_sgpr_dispatch_id 0
		.amdhsa_user_sgpr_flat_scratch_init 0
		.amdhsa_user_sgpr_private_segment_size 0
		.amdhsa_uses_dynamic_stack 0
		.amdhsa_system_sgpr_private_segment_wavefront_offset 0
		.amdhsa_system_sgpr_workgroup_id_x 1
		.amdhsa_system_sgpr_workgroup_id_y 1
		.amdhsa_system_sgpr_workgroup_id_z 0
		.amdhsa_system_sgpr_workgroup_info 0
		.amdhsa_system_vgpr_workitem_id 0
		.amdhsa_next_free_vgpr 6
		.amdhsa_next_free_sgpr 16
		.amdhsa_reserve_vcc 1
		.amdhsa_reserve_flat_scratch 0
		.amdhsa_float_round_mode_32 0
		.amdhsa_float_round_mode_16_64 0
		.amdhsa_float_denorm_mode_32 3
		.amdhsa_float_denorm_mode_16_64 3
		.amdhsa_dx10_clamp 1
		.amdhsa_ieee_mode 1
		.amdhsa_fp16_overflow 0
		.amdhsa_exception_fp_ieee_invalid_op 0
		.amdhsa_exception_fp_denorm_src 0
		.amdhsa_exception_fp_ieee_div_zero 0
		.amdhsa_exception_fp_ieee_overflow 0
		.amdhsa_exception_fp_ieee_underflow 0
		.amdhsa_exception_fp_ieee_inexact 0
		.amdhsa_exception_int_div_zero 0
	.end_amdhsa_kernel
	.section	.text._ZL36rocblas_check_numerics_vector_kernelILi256EPfEviT0_lllP24rocblas_check_numerics_s,"axG",@progbits,_ZL36rocblas_check_numerics_vector_kernelILi256EPfEviT0_lllP24rocblas_check_numerics_s,comdat
.Lfunc_end0:
	.size	_ZL36rocblas_check_numerics_vector_kernelILi256EPfEviT0_lllP24rocblas_check_numerics_s, .Lfunc_end0-_ZL36rocblas_check_numerics_vector_kernelILi256EPfEviT0_lllP24rocblas_check_numerics_s
                                        ; -- End function
	.set _ZL36rocblas_check_numerics_vector_kernelILi256EPfEviT0_lllP24rocblas_check_numerics_s.num_vgpr, 6
	.set _ZL36rocblas_check_numerics_vector_kernelILi256EPfEviT0_lllP24rocblas_check_numerics_s.num_agpr, 0
	.set _ZL36rocblas_check_numerics_vector_kernelILi256EPfEviT0_lllP24rocblas_check_numerics_s.numbered_sgpr, 16
	.set _ZL36rocblas_check_numerics_vector_kernelILi256EPfEviT0_lllP24rocblas_check_numerics_s.num_named_barrier, 0
	.set _ZL36rocblas_check_numerics_vector_kernelILi256EPfEviT0_lllP24rocblas_check_numerics_s.private_seg_size, 0
	.set _ZL36rocblas_check_numerics_vector_kernelILi256EPfEviT0_lllP24rocblas_check_numerics_s.uses_vcc, 1
	.set _ZL36rocblas_check_numerics_vector_kernelILi256EPfEviT0_lllP24rocblas_check_numerics_s.uses_flat_scratch, 0
	.set _ZL36rocblas_check_numerics_vector_kernelILi256EPfEviT0_lllP24rocblas_check_numerics_s.has_dyn_sized_stack, 0
	.set _ZL36rocblas_check_numerics_vector_kernelILi256EPfEviT0_lllP24rocblas_check_numerics_s.has_recursion, 0
	.set _ZL36rocblas_check_numerics_vector_kernelILi256EPfEviT0_lllP24rocblas_check_numerics_s.has_indirect_call, 0
	.section	.AMDGPU.csdata,"",@progbits
; Kernel info:
; codeLenInByte = 456
; TotalNumSgprs: 20
; NumVgprs: 6
; ScratchSize: 0
; MemoryBound: 0
; FloatMode: 240
; IeeeMode: 1
; LDSByteSize: 0 bytes/workgroup (compile time only)
; SGPRBlocks: 2
; VGPRBlocks: 1
; NumSGPRsForWavesPerEU: 20
; NumVGPRsForWavesPerEU: 6
; Occupancy: 10
; WaveLimiterHint : 0
; COMPUTE_PGM_RSRC2:SCRATCH_EN: 0
; COMPUTE_PGM_RSRC2:USER_SGPR: 6
; COMPUTE_PGM_RSRC2:TRAP_HANDLER: 0
; COMPUTE_PGM_RSRC2:TGID_X_EN: 1
; COMPUTE_PGM_RSRC2:TGID_Y_EN: 1
; COMPUTE_PGM_RSRC2:TGID_Z_EN: 0
; COMPUTE_PGM_RSRC2:TIDIG_COMP_CNT: 0
	.section	.text._ZL36rocblas_check_numerics_vector_kernelILi256EPKPfEviT0_lllP24rocblas_check_numerics_s,"axG",@progbits,_ZL36rocblas_check_numerics_vector_kernelILi256EPKPfEviT0_lllP24rocblas_check_numerics_s,comdat
	.globl	_ZL36rocblas_check_numerics_vector_kernelILi256EPKPfEviT0_lllP24rocblas_check_numerics_s ; -- Begin function _ZL36rocblas_check_numerics_vector_kernelILi256EPKPfEviT0_lllP24rocblas_check_numerics_s
	.p2align	8
	.type	_ZL36rocblas_check_numerics_vector_kernelILi256EPKPfEviT0_lllP24rocblas_check_numerics_s,@function
_ZL36rocblas_check_numerics_vector_kernelILi256EPKPfEviT0_lllP24rocblas_check_numerics_s: ; @_ZL36rocblas_check_numerics_vector_kernelILi256EPKPfEviT0_lllP24rocblas_check_numerics_s
; %bb.0:
	s_load_dword s2, s[4:5], 0x0
	s_load_dword s1, s[4:5], 0x3c
	v_mov_b32_e32 v1, 0
	s_waitcnt lgkmcnt(0)
	s_ashr_i32 s3, s2, 31
	s_and_b32 s1, s1, 0xffff
	s_mul_i32 s6, s6, s1
	v_add_u32_e32 v0, s6, v0
	v_cmp_gt_i64_e32 vcc, s[2:3], v[0:1]
	s_and_saveexec_b64 s[2:3], vcc
	s_cbranch_execz .LBB1_10
; %bb.1:
	s_mov_b32 s0, s7
	s_load_dwordx4 s[8:11], s[4:5], 0x8
	s_load_dwordx2 s[6:7], s[4:5], 0x18
	s_load_dwordx2 s[2:3], s[4:5], 0x28
	s_mov_b32 s1, 0
	s_lshl_b64 s[0:1], s[0:1], 3
	s_waitcnt lgkmcnt(0)
	s_add_u32 s0, s8, s0
	v_mad_u64_u32 v[2:3], s[4:5], s6, v0, 0
	s_addc_u32 s1, s9, s1
	s_load_dwordx2 s[0:1], s[0:1], 0x0
	v_mad_u64_u32 v[3:4], s[4:5], s7, v0, v[3:4]
	s_lshl_b64 s[4:5], s[10:11], 2
	global_load_ubyte v5, v1, s[2:3] offset:1
	s_waitcnt lgkmcnt(0)
	s_add_u32 s0, s0, s4
	v_lshlrev_b64 v[2:3], 2, v[2:3]
	s_addc_u32 s1, s1, s5
	v_mov_b32_e32 v4, s1
	v_add_co_u32_e32 v0, vcc, s0, v2
	v_addc_co_u32_e32 v1, vcc, v4, v3, vcc
	flat_load_dword v0, v[0:1]
	s_waitcnt vmcnt(0)
	v_readfirstlane_b32 s0, v5
	s_bitcmp1_b32 s0, 0
	s_cselect_b64 s[0:1], -1, 0
	s_xor_b64 s[0:1], s[0:1], -1
	s_waitcnt lgkmcnt(0)
	v_cmp_eq_f32_e32 vcc, 0, v0
	s_and_b64 s[4:5], s[0:1], vcc
	s_and_saveexec_b64 s[0:1], s[4:5]
	s_cbranch_execz .LBB1_3
; %bb.2:
	v_mov_b32_e32 v1, 0
	v_mov_b32_e32 v2, 1
	global_store_byte v1, v2, s[2:3] offset:1
.LBB1_3:
	s_or_b64 exec, exec, s[0:1]
	v_mov_b32_e32 v1, 0
	global_load_ubyte v2, v1, s[2:3]
	v_cmp_u_f32_e32 vcc, v0, v0
	s_waitcnt vmcnt(0)
	v_readfirstlane_b32 s0, v2
	s_bitcmp1_b32 s0, 0
	s_cselect_b64 s[0:1], -1, 0
	s_xor_b64 s[0:1], s[0:1], -1
	s_and_b64 s[4:5], s[0:1], vcc
	s_and_saveexec_b64 s[0:1], s[4:5]
	s_cbranch_execz .LBB1_5
; %bb.4:
	v_mov_b32_e32 v2, 1
	global_store_byte v1, v2, s[2:3]
.LBB1_5:
	s_or_b64 exec, exec, s[0:1]
	global_load_ubyte v1, v1, s[2:3] offset:2
	s_movk_i32 s4, 0x204
	v_cmp_class_f32_e64 s[4:5], v0, s4
	s_waitcnt vmcnt(0)
	v_readfirstlane_b32 s0, v1
	s_bitcmp1_b32 s0, 0
	s_cselect_b64 s[0:1], -1, 0
	s_xor_b64 s[0:1], s[0:1], -1
	s_and_b64 s[4:5], s[0:1], s[4:5]
	s_and_saveexec_b64 s[0:1], s[4:5]
	s_cbranch_execz .LBB1_7
; %bb.6:
	v_mov_b32_e32 v1, 0
	v_mov_b32_e32 v2, 1
	global_store_byte v1, v2, s[2:3] offset:2
.LBB1_7:
	s_or_b64 exec, exec, s[0:1]
	v_mov_b32_e32 v1, 0
	global_load_ubyte v1, v1, s[2:3] offset:3
	s_waitcnt vmcnt(0)
	v_and_b32_e32 v1, 1, v1
	v_cmp_eq_u32_e32 vcc, 1, v1
	s_cbranch_vccnz .LBB1_10
; %bb.8:
	v_cmp_gt_f32_e32 vcc, 0, v0
	v_cndmask_b32_e64 v0, v0, -v0, vcc
	s_mov_b32 s0, 0x800000
	v_cmp_le_f32_e32 vcc, 1, v0
	v_cmp_gt_f32_e64 s[0:1], s0, v0
	s_and_b64 s[0:1], vcc, s[0:1]
	s_and_b64 exec, exec, s[0:1]
	s_cbranch_execz .LBB1_10
; %bb.9:
	v_mov_b32_e32 v0, 0
	v_mov_b32_e32 v1, 1
	global_store_byte v0, v1, s[2:3] offset:3
.LBB1_10:
	s_endpgm
	.section	.rodata,"a",@progbits
	.p2align	6, 0x0
	.amdhsa_kernel _ZL36rocblas_check_numerics_vector_kernelILi256EPKPfEviT0_lllP24rocblas_check_numerics_s
		.amdhsa_group_segment_fixed_size 0
		.amdhsa_private_segment_fixed_size 0
		.amdhsa_kernarg_size 304
		.amdhsa_user_sgpr_count 6
		.amdhsa_user_sgpr_private_segment_buffer 1
		.amdhsa_user_sgpr_dispatch_ptr 0
		.amdhsa_user_sgpr_queue_ptr 0
		.amdhsa_user_sgpr_kernarg_segment_ptr 1
		.amdhsa_user_sgpr_dispatch_id 0
		.amdhsa_user_sgpr_flat_scratch_init 0
		.amdhsa_user_sgpr_private_segment_size 0
		.amdhsa_uses_dynamic_stack 0
		.amdhsa_system_sgpr_private_segment_wavefront_offset 0
		.amdhsa_system_sgpr_workgroup_id_x 1
		.amdhsa_system_sgpr_workgroup_id_y 1
		.amdhsa_system_sgpr_workgroup_id_z 0
		.amdhsa_system_sgpr_workgroup_info 0
		.amdhsa_system_vgpr_workitem_id 0
		.amdhsa_next_free_vgpr 6
		.amdhsa_next_free_sgpr 12
		.amdhsa_reserve_vcc 1
		.amdhsa_reserve_flat_scratch 0
		.amdhsa_float_round_mode_32 0
		.amdhsa_float_round_mode_16_64 0
		.amdhsa_float_denorm_mode_32 3
		.amdhsa_float_denorm_mode_16_64 3
		.amdhsa_dx10_clamp 1
		.amdhsa_ieee_mode 1
		.amdhsa_fp16_overflow 0
		.amdhsa_exception_fp_ieee_invalid_op 0
		.amdhsa_exception_fp_denorm_src 0
		.amdhsa_exception_fp_ieee_div_zero 0
		.amdhsa_exception_fp_ieee_overflow 0
		.amdhsa_exception_fp_ieee_underflow 0
		.amdhsa_exception_fp_ieee_inexact 0
		.amdhsa_exception_int_div_zero 0
	.end_amdhsa_kernel
	.section	.text._ZL36rocblas_check_numerics_vector_kernelILi256EPKPfEviT0_lllP24rocblas_check_numerics_s,"axG",@progbits,_ZL36rocblas_check_numerics_vector_kernelILi256EPKPfEviT0_lllP24rocblas_check_numerics_s,comdat
.Lfunc_end1:
	.size	_ZL36rocblas_check_numerics_vector_kernelILi256EPKPfEviT0_lllP24rocblas_check_numerics_s, .Lfunc_end1-_ZL36rocblas_check_numerics_vector_kernelILi256EPKPfEviT0_lllP24rocblas_check_numerics_s
                                        ; -- End function
	.set _ZL36rocblas_check_numerics_vector_kernelILi256EPKPfEviT0_lllP24rocblas_check_numerics_s.num_vgpr, 6
	.set _ZL36rocblas_check_numerics_vector_kernelILi256EPKPfEviT0_lllP24rocblas_check_numerics_s.num_agpr, 0
	.set _ZL36rocblas_check_numerics_vector_kernelILi256EPKPfEviT0_lllP24rocblas_check_numerics_s.numbered_sgpr, 12
	.set _ZL36rocblas_check_numerics_vector_kernelILi256EPKPfEviT0_lllP24rocblas_check_numerics_s.num_named_barrier, 0
	.set _ZL36rocblas_check_numerics_vector_kernelILi256EPKPfEviT0_lllP24rocblas_check_numerics_s.private_seg_size, 0
	.set _ZL36rocblas_check_numerics_vector_kernelILi256EPKPfEviT0_lllP24rocblas_check_numerics_s.uses_vcc, 1
	.set _ZL36rocblas_check_numerics_vector_kernelILi256EPKPfEviT0_lllP24rocblas_check_numerics_s.uses_flat_scratch, 0
	.set _ZL36rocblas_check_numerics_vector_kernelILi256EPKPfEviT0_lllP24rocblas_check_numerics_s.has_dyn_sized_stack, 0
	.set _ZL36rocblas_check_numerics_vector_kernelILi256EPKPfEviT0_lllP24rocblas_check_numerics_s.has_recursion, 0
	.set _ZL36rocblas_check_numerics_vector_kernelILi256EPKPfEviT0_lllP24rocblas_check_numerics_s.has_indirect_call, 0
	.section	.AMDGPU.csdata,"",@progbits
; Kernel info:
; codeLenInByte = 468
; TotalNumSgprs: 16
; NumVgprs: 6
; ScratchSize: 0
; MemoryBound: 0
; FloatMode: 240
; IeeeMode: 1
; LDSByteSize: 0 bytes/workgroup (compile time only)
; SGPRBlocks: 1
; VGPRBlocks: 1
; NumSGPRsForWavesPerEU: 16
; NumVGPRsForWavesPerEU: 6
; Occupancy: 10
; WaveLimiterHint : 1
; COMPUTE_PGM_RSRC2:SCRATCH_EN: 0
; COMPUTE_PGM_RSRC2:USER_SGPR: 6
; COMPUTE_PGM_RSRC2:TRAP_HANDLER: 0
; COMPUTE_PGM_RSRC2:TGID_X_EN: 1
; COMPUTE_PGM_RSRC2:TGID_Y_EN: 1
; COMPUTE_PGM_RSRC2:TGID_Z_EN: 0
; COMPUTE_PGM_RSRC2:TIDIG_COMP_CNT: 0
	.section	.text._ZL36rocblas_check_numerics_vector_kernelILi256EPKfEviT0_lllP24rocblas_check_numerics_s,"axG",@progbits,_ZL36rocblas_check_numerics_vector_kernelILi256EPKfEviT0_lllP24rocblas_check_numerics_s,comdat
	.globl	_ZL36rocblas_check_numerics_vector_kernelILi256EPKfEviT0_lllP24rocblas_check_numerics_s ; -- Begin function _ZL36rocblas_check_numerics_vector_kernelILi256EPKfEviT0_lllP24rocblas_check_numerics_s
	.p2align	8
	.type	_ZL36rocblas_check_numerics_vector_kernelILi256EPKfEviT0_lllP24rocblas_check_numerics_s,@function
_ZL36rocblas_check_numerics_vector_kernelILi256EPKfEviT0_lllP24rocblas_check_numerics_s: ; @_ZL36rocblas_check_numerics_vector_kernelILi256EPKfEviT0_lllP24rocblas_check_numerics_s
; %bb.0:
	s_load_dword s0, s[4:5], 0x0
	s_load_dword s2, s[4:5], 0x3c
	v_mov_b32_e32 v1, 0
	s_waitcnt lgkmcnt(0)
	s_ashr_i32 s1, s0, 31
	s_and_b32 s2, s2, 0xffff
	s_mul_i32 s6, s6, s2
	v_add_u32_e32 v0, s6, v0
	v_cmp_gt_i64_e32 vcc, s[0:1], v[0:1]
	s_and_saveexec_b64 s[0:1], vcc
	s_cbranch_execz .LBB2_10
; %bb.1:
	s_load_dwordx8 s[8:15], s[4:5], 0x8
	s_load_dwordx2 s[2:3], s[4:5], 0x28
	s_waitcnt lgkmcnt(0)
	s_mul_i32 s1, s15, s7
	s_mul_hi_u32 s4, s14, s7
	s_add_i32 s1, s4, s1
	v_mad_u64_u32 v[2:3], s[4:5], s12, v0, 0
	s_mul_i32 s0, s14, s7
	s_lshl_b64 s[0:1], s[0:1], 2
	s_add_u32 s4, s8, s0
	s_addc_u32 s5, s9, s1
	v_mad_u64_u32 v[3:4], s[0:1], s13, v0, v[3:4]
	s_lshl_b64 s[0:1], s[10:11], 2
	s_add_u32 s0, s4, s0
	v_lshlrev_b64 v[2:3], 2, v[2:3]
	s_addc_u32 s1, s5, s1
	global_load_ubyte v5, v1, s[2:3] offset:1
	v_mov_b32_e32 v4, s1
	v_add_co_u32_e32 v0, vcc, s0, v2
	v_addc_co_u32_e32 v1, vcc, v4, v3, vcc
	global_load_dword v0, v[0:1], off
	s_waitcnt vmcnt(1)
	v_readfirstlane_b32 s0, v5
	s_bitcmp1_b32 s0, 0
	s_cselect_b64 s[0:1], -1, 0
	s_xor_b64 s[0:1], s[0:1], -1
	s_waitcnt vmcnt(0)
	v_cmp_eq_f32_e32 vcc, 0, v0
	s_and_b64 s[4:5], s[0:1], vcc
	s_and_saveexec_b64 s[0:1], s[4:5]
	s_cbranch_execz .LBB2_3
; %bb.2:
	v_mov_b32_e32 v1, 0
	v_mov_b32_e32 v2, 1
	global_store_byte v1, v2, s[2:3] offset:1
.LBB2_3:
	s_or_b64 exec, exec, s[0:1]
	v_mov_b32_e32 v1, 0
	global_load_ubyte v2, v1, s[2:3]
	v_cmp_u_f32_e32 vcc, v0, v0
	s_waitcnt vmcnt(0)
	v_readfirstlane_b32 s0, v2
	s_bitcmp1_b32 s0, 0
	s_cselect_b64 s[0:1], -1, 0
	s_xor_b64 s[0:1], s[0:1], -1
	s_and_b64 s[4:5], s[0:1], vcc
	s_and_saveexec_b64 s[0:1], s[4:5]
	s_cbranch_execz .LBB2_5
; %bb.4:
	v_mov_b32_e32 v2, 1
	global_store_byte v1, v2, s[2:3]
.LBB2_5:
	s_or_b64 exec, exec, s[0:1]
	global_load_ubyte v1, v1, s[2:3] offset:2
	s_movk_i32 s4, 0x204
	v_cmp_class_f32_e64 s[4:5], v0, s4
	s_waitcnt vmcnt(0)
	v_readfirstlane_b32 s0, v1
	s_bitcmp1_b32 s0, 0
	s_cselect_b64 s[0:1], -1, 0
	s_xor_b64 s[0:1], s[0:1], -1
	s_and_b64 s[4:5], s[0:1], s[4:5]
	s_and_saveexec_b64 s[0:1], s[4:5]
	s_cbranch_execz .LBB2_7
; %bb.6:
	v_mov_b32_e32 v1, 0
	v_mov_b32_e32 v2, 1
	global_store_byte v1, v2, s[2:3] offset:2
.LBB2_7:
	s_or_b64 exec, exec, s[0:1]
	v_mov_b32_e32 v1, 0
	global_load_ubyte v1, v1, s[2:3] offset:3
	s_waitcnt vmcnt(0)
	v_and_b32_e32 v1, 1, v1
	v_cmp_eq_u32_e32 vcc, 1, v1
	s_cbranch_vccnz .LBB2_10
; %bb.8:
	v_cmp_gt_f32_e32 vcc, 0, v0
	v_cndmask_b32_e64 v0, v0, -v0, vcc
	s_mov_b32 s0, 0x800000
	v_cmp_le_f32_e32 vcc, 1, v0
	v_cmp_gt_f32_e64 s[0:1], s0, v0
	s_and_b64 s[0:1], vcc, s[0:1]
	s_and_b64 exec, exec, s[0:1]
	s_cbranch_execz .LBB2_10
; %bb.9:
	v_mov_b32_e32 v0, 0
	v_mov_b32_e32 v1, 1
	global_store_byte v0, v1, s[2:3] offset:3
.LBB2_10:
	s_endpgm
	.section	.rodata,"a",@progbits
	.p2align	6, 0x0
	.amdhsa_kernel _ZL36rocblas_check_numerics_vector_kernelILi256EPKfEviT0_lllP24rocblas_check_numerics_s
		.amdhsa_group_segment_fixed_size 0
		.amdhsa_private_segment_fixed_size 0
		.amdhsa_kernarg_size 304
		.amdhsa_user_sgpr_count 6
		.amdhsa_user_sgpr_private_segment_buffer 1
		.amdhsa_user_sgpr_dispatch_ptr 0
		.amdhsa_user_sgpr_queue_ptr 0
		.amdhsa_user_sgpr_kernarg_segment_ptr 1
		.amdhsa_user_sgpr_dispatch_id 0
		.amdhsa_user_sgpr_flat_scratch_init 0
		.amdhsa_user_sgpr_private_segment_size 0
		.amdhsa_uses_dynamic_stack 0
		.amdhsa_system_sgpr_private_segment_wavefront_offset 0
		.amdhsa_system_sgpr_workgroup_id_x 1
		.amdhsa_system_sgpr_workgroup_id_y 1
		.amdhsa_system_sgpr_workgroup_id_z 0
		.amdhsa_system_sgpr_workgroup_info 0
		.amdhsa_system_vgpr_workitem_id 0
		.amdhsa_next_free_vgpr 6
		.amdhsa_next_free_sgpr 16
		.amdhsa_reserve_vcc 1
		.amdhsa_reserve_flat_scratch 0
		.amdhsa_float_round_mode_32 0
		.amdhsa_float_round_mode_16_64 0
		.amdhsa_float_denorm_mode_32 3
		.amdhsa_float_denorm_mode_16_64 3
		.amdhsa_dx10_clamp 1
		.amdhsa_ieee_mode 1
		.amdhsa_fp16_overflow 0
		.amdhsa_exception_fp_ieee_invalid_op 0
		.amdhsa_exception_fp_denorm_src 0
		.amdhsa_exception_fp_ieee_div_zero 0
		.amdhsa_exception_fp_ieee_overflow 0
		.amdhsa_exception_fp_ieee_underflow 0
		.amdhsa_exception_fp_ieee_inexact 0
		.amdhsa_exception_int_div_zero 0
	.end_amdhsa_kernel
	.section	.text._ZL36rocblas_check_numerics_vector_kernelILi256EPKfEviT0_lllP24rocblas_check_numerics_s,"axG",@progbits,_ZL36rocblas_check_numerics_vector_kernelILi256EPKfEviT0_lllP24rocblas_check_numerics_s,comdat
.Lfunc_end2:
	.size	_ZL36rocblas_check_numerics_vector_kernelILi256EPKfEviT0_lllP24rocblas_check_numerics_s, .Lfunc_end2-_ZL36rocblas_check_numerics_vector_kernelILi256EPKfEviT0_lllP24rocblas_check_numerics_s
                                        ; -- End function
	.set _ZL36rocblas_check_numerics_vector_kernelILi256EPKfEviT0_lllP24rocblas_check_numerics_s.num_vgpr, 6
	.set _ZL36rocblas_check_numerics_vector_kernelILi256EPKfEviT0_lllP24rocblas_check_numerics_s.num_agpr, 0
	.set _ZL36rocblas_check_numerics_vector_kernelILi256EPKfEviT0_lllP24rocblas_check_numerics_s.numbered_sgpr, 16
	.set _ZL36rocblas_check_numerics_vector_kernelILi256EPKfEviT0_lllP24rocblas_check_numerics_s.num_named_barrier, 0
	.set _ZL36rocblas_check_numerics_vector_kernelILi256EPKfEviT0_lllP24rocblas_check_numerics_s.private_seg_size, 0
	.set _ZL36rocblas_check_numerics_vector_kernelILi256EPKfEviT0_lllP24rocblas_check_numerics_s.uses_vcc, 1
	.set _ZL36rocblas_check_numerics_vector_kernelILi256EPKfEviT0_lllP24rocblas_check_numerics_s.uses_flat_scratch, 0
	.set _ZL36rocblas_check_numerics_vector_kernelILi256EPKfEviT0_lllP24rocblas_check_numerics_s.has_dyn_sized_stack, 0
	.set _ZL36rocblas_check_numerics_vector_kernelILi256EPKfEviT0_lllP24rocblas_check_numerics_s.has_recursion, 0
	.set _ZL36rocblas_check_numerics_vector_kernelILi256EPKfEviT0_lllP24rocblas_check_numerics_s.has_indirect_call, 0
	.section	.AMDGPU.csdata,"",@progbits
; Kernel info:
; codeLenInByte = 456
; TotalNumSgprs: 20
; NumVgprs: 6
; ScratchSize: 0
; MemoryBound: 0
; FloatMode: 240
; IeeeMode: 1
; LDSByteSize: 0 bytes/workgroup (compile time only)
; SGPRBlocks: 2
; VGPRBlocks: 1
; NumSGPRsForWavesPerEU: 20
; NumVGPRsForWavesPerEU: 6
; Occupancy: 10
; WaveLimiterHint : 0
; COMPUTE_PGM_RSRC2:SCRATCH_EN: 0
; COMPUTE_PGM_RSRC2:USER_SGPR: 6
; COMPUTE_PGM_RSRC2:TRAP_HANDLER: 0
; COMPUTE_PGM_RSRC2:TGID_X_EN: 1
; COMPUTE_PGM_RSRC2:TGID_Y_EN: 1
; COMPUTE_PGM_RSRC2:TGID_Z_EN: 0
; COMPUTE_PGM_RSRC2:TIDIG_COMP_CNT: 0
	.section	.text._ZL36rocblas_check_numerics_vector_kernelILi256EPKPKfEviT0_lllP24rocblas_check_numerics_s,"axG",@progbits,_ZL36rocblas_check_numerics_vector_kernelILi256EPKPKfEviT0_lllP24rocblas_check_numerics_s,comdat
	.globl	_ZL36rocblas_check_numerics_vector_kernelILi256EPKPKfEviT0_lllP24rocblas_check_numerics_s ; -- Begin function _ZL36rocblas_check_numerics_vector_kernelILi256EPKPKfEviT0_lllP24rocblas_check_numerics_s
	.p2align	8
	.type	_ZL36rocblas_check_numerics_vector_kernelILi256EPKPKfEviT0_lllP24rocblas_check_numerics_s,@function
_ZL36rocblas_check_numerics_vector_kernelILi256EPKPKfEviT0_lllP24rocblas_check_numerics_s: ; @_ZL36rocblas_check_numerics_vector_kernelILi256EPKPKfEviT0_lllP24rocblas_check_numerics_s
; %bb.0:
	s_load_dword s2, s[4:5], 0x0
	s_load_dword s1, s[4:5], 0x3c
	v_mov_b32_e32 v1, 0
	s_waitcnt lgkmcnt(0)
	s_ashr_i32 s3, s2, 31
	s_and_b32 s1, s1, 0xffff
	s_mul_i32 s6, s6, s1
	v_add_u32_e32 v0, s6, v0
	v_cmp_gt_i64_e32 vcc, s[2:3], v[0:1]
	s_and_saveexec_b64 s[2:3], vcc
	s_cbranch_execz .LBB3_10
; %bb.1:
	s_mov_b32 s0, s7
	s_load_dwordx4 s[8:11], s[4:5], 0x8
	s_load_dwordx2 s[6:7], s[4:5], 0x18
	s_load_dwordx2 s[2:3], s[4:5], 0x28
	s_mov_b32 s1, 0
	s_lshl_b64 s[0:1], s[0:1], 3
	s_waitcnt lgkmcnt(0)
	s_add_u32 s0, s8, s0
	v_mad_u64_u32 v[2:3], s[4:5], s6, v0, 0
	s_addc_u32 s1, s9, s1
	s_load_dwordx2 s[0:1], s[0:1], 0x0
	v_mad_u64_u32 v[3:4], s[4:5], s7, v0, v[3:4]
	s_lshl_b64 s[4:5], s[10:11], 2
	global_load_ubyte v5, v1, s[2:3] offset:1
	s_waitcnt lgkmcnt(0)
	s_add_u32 s0, s0, s4
	v_lshlrev_b64 v[2:3], 2, v[2:3]
	s_addc_u32 s1, s1, s5
	v_mov_b32_e32 v4, s1
	v_add_co_u32_e32 v0, vcc, s0, v2
	v_addc_co_u32_e32 v1, vcc, v4, v3, vcc
	flat_load_dword v0, v[0:1]
	s_waitcnt vmcnt(0)
	v_readfirstlane_b32 s0, v5
	s_bitcmp1_b32 s0, 0
	s_cselect_b64 s[0:1], -1, 0
	s_xor_b64 s[0:1], s[0:1], -1
	s_waitcnt lgkmcnt(0)
	v_cmp_eq_f32_e32 vcc, 0, v0
	s_and_b64 s[4:5], s[0:1], vcc
	s_and_saveexec_b64 s[0:1], s[4:5]
	s_cbranch_execz .LBB3_3
; %bb.2:
	v_mov_b32_e32 v1, 0
	v_mov_b32_e32 v2, 1
	global_store_byte v1, v2, s[2:3] offset:1
.LBB3_3:
	s_or_b64 exec, exec, s[0:1]
	v_mov_b32_e32 v1, 0
	global_load_ubyte v2, v1, s[2:3]
	v_cmp_u_f32_e32 vcc, v0, v0
	s_waitcnt vmcnt(0)
	v_readfirstlane_b32 s0, v2
	s_bitcmp1_b32 s0, 0
	s_cselect_b64 s[0:1], -1, 0
	s_xor_b64 s[0:1], s[0:1], -1
	s_and_b64 s[4:5], s[0:1], vcc
	s_and_saveexec_b64 s[0:1], s[4:5]
	s_cbranch_execz .LBB3_5
; %bb.4:
	v_mov_b32_e32 v2, 1
	global_store_byte v1, v2, s[2:3]
.LBB3_5:
	s_or_b64 exec, exec, s[0:1]
	global_load_ubyte v1, v1, s[2:3] offset:2
	s_movk_i32 s4, 0x204
	v_cmp_class_f32_e64 s[4:5], v0, s4
	s_waitcnt vmcnt(0)
	v_readfirstlane_b32 s0, v1
	s_bitcmp1_b32 s0, 0
	s_cselect_b64 s[0:1], -1, 0
	s_xor_b64 s[0:1], s[0:1], -1
	s_and_b64 s[4:5], s[0:1], s[4:5]
	s_and_saveexec_b64 s[0:1], s[4:5]
	s_cbranch_execz .LBB3_7
; %bb.6:
	v_mov_b32_e32 v1, 0
	v_mov_b32_e32 v2, 1
	global_store_byte v1, v2, s[2:3] offset:2
.LBB3_7:
	s_or_b64 exec, exec, s[0:1]
	v_mov_b32_e32 v1, 0
	global_load_ubyte v1, v1, s[2:3] offset:3
	s_waitcnt vmcnt(0)
	v_and_b32_e32 v1, 1, v1
	v_cmp_eq_u32_e32 vcc, 1, v1
	s_cbranch_vccnz .LBB3_10
; %bb.8:
	v_cmp_gt_f32_e32 vcc, 0, v0
	v_cndmask_b32_e64 v0, v0, -v0, vcc
	s_mov_b32 s0, 0x800000
	v_cmp_le_f32_e32 vcc, 1, v0
	v_cmp_gt_f32_e64 s[0:1], s0, v0
	s_and_b64 s[0:1], vcc, s[0:1]
	s_and_b64 exec, exec, s[0:1]
	s_cbranch_execz .LBB3_10
; %bb.9:
	v_mov_b32_e32 v0, 0
	v_mov_b32_e32 v1, 1
	global_store_byte v0, v1, s[2:3] offset:3
.LBB3_10:
	s_endpgm
	.section	.rodata,"a",@progbits
	.p2align	6, 0x0
	.amdhsa_kernel _ZL36rocblas_check_numerics_vector_kernelILi256EPKPKfEviT0_lllP24rocblas_check_numerics_s
		.amdhsa_group_segment_fixed_size 0
		.amdhsa_private_segment_fixed_size 0
		.amdhsa_kernarg_size 304
		.amdhsa_user_sgpr_count 6
		.amdhsa_user_sgpr_private_segment_buffer 1
		.amdhsa_user_sgpr_dispatch_ptr 0
		.amdhsa_user_sgpr_queue_ptr 0
		.amdhsa_user_sgpr_kernarg_segment_ptr 1
		.amdhsa_user_sgpr_dispatch_id 0
		.amdhsa_user_sgpr_flat_scratch_init 0
		.amdhsa_user_sgpr_private_segment_size 0
		.amdhsa_uses_dynamic_stack 0
		.amdhsa_system_sgpr_private_segment_wavefront_offset 0
		.amdhsa_system_sgpr_workgroup_id_x 1
		.amdhsa_system_sgpr_workgroup_id_y 1
		.amdhsa_system_sgpr_workgroup_id_z 0
		.amdhsa_system_sgpr_workgroup_info 0
		.amdhsa_system_vgpr_workitem_id 0
		.amdhsa_next_free_vgpr 6
		.amdhsa_next_free_sgpr 12
		.amdhsa_reserve_vcc 1
		.amdhsa_reserve_flat_scratch 0
		.amdhsa_float_round_mode_32 0
		.amdhsa_float_round_mode_16_64 0
		.amdhsa_float_denorm_mode_32 3
		.amdhsa_float_denorm_mode_16_64 3
		.amdhsa_dx10_clamp 1
		.amdhsa_ieee_mode 1
		.amdhsa_fp16_overflow 0
		.amdhsa_exception_fp_ieee_invalid_op 0
		.amdhsa_exception_fp_denorm_src 0
		.amdhsa_exception_fp_ieee_div_zero 0
		.amdhsa_exception_fp_ieee_overflow 0
		.amdhsa_exception_fp_ieee_underflow 0
		.amdhsa_exception_fp_ieee_inexact 0
		.amdhsa_exception_int_div_zero 0
	.end_amdhsa_kernel
	.section	.text._ZL36rocblas_check_numerics_vector_kernelILi256EPKPKfEviT0_lllP24rocblas_check_numerics_s,"axG",@progbits,_ZL36rocblas_check_numerics_vector_kernelILi256EPKPKfEviT0_lllP24rocblas_check_numerics_s,comdat
.Lfunc_end3:
	.size	_ZL36rocblas_check_numerics_vector_kernelILi256EPKPKfEviT0_lllP24rocblas_check_numerics_s, .Lfunc_end3-_ZL36rocblas_check_numerics_vector_kernelILi256EPKPKfEviT0_lllP24rocblas_check_numerics_s
                                        ; -- End function
	.set _ZL36rocblas_check_numerics_vector_kernelILi256EPKPKfEviT0_lllP24rocblas_check_numerics_s.num_vgpr, 6
	.set _ZL36rocblas_check_numerics_vector_kernelILi256EPKPKfEviT0_lllP24rocblas_check_numerics_s.num_agpr, 0
	.set _ZL36rocblas_check_numerics_vector_kernelILi256EPKPKfEviT0_lllP24rocblas_check_numerics_s.numbered_sgpr, 12
	.set _ZL36rocblas_check_numerics_vector_kernelILi256EPKPKfEviT0_lllP24rocblas_check_numerics_s.num_named_barrier, 0
	.set _ZL36rocblas_check_numerics_vector_kernelILi256EPKPKfEviT0_lllP24rocblas_check_numerics_s.private_seg_size, 0
	.set _ZL36rocblas_check_numerics_vector_kernelILi256EPKPKfEviT0_lllP24rocblas_check_numerics_s.uses_vcc, 1
	.set _ZL36rocblas_check_numerics_vector_kernelILi256EPKPKfEviT0_lllP24rocblas_check_numerics_s.uses_flat_scratch, 0
	.set _ZL36rocblas_check_numerics_vector_kernelILi256EPKPKfEviT0_lllP24rocblas_check_numerics_s.has_dyn_sized_stack, 0
	.set _ZL36rocblas_check_numerics_vector_kernelILi256EPKPKfEviT0_lllP24rocblas_check_numerics_s.has_recursion, 0
	.set _ZL36rocblas_check_numerics_vector_kernelILi256EPKPKfEviT0_lllP24rocblas_check_numerics_s.has_indirect_call, 0
	.section	.AMDGPU.csdata,"",@progbits
; Kernel info:
; codeLenInByte = 468
; TotalNumSgprs: 16
; NumVgprs: 6
; ScratchSize: 0
; MemoryBound: 0
; FloatMode: 240
; IeeeMode: 1
; LDSByteSize: 0 bytes/workgroup (compile time only)
; SGPRBlocks: 1
; VGPRBlocks: 1
; NumSGPRsForWavesPerEU: 16
; NumVGPRsForWavesPerEU: 6
; Occupancy: 10
; WaveLimiterHint : 1
; COMPUTE_PGM_RSRC2:SCRATCH_EN: 0
; COMPUTE_PGM_RSRC2:USER_SGPR: 6
; COMPUTE_PGM_RSRC2:TRAP_HANDLER: 0
; COMPUTE_PGM_RSRC2:TGID_X_EN: 1
; COMPUTE_PGM_RSRC2:TGID_Y_EN: 1
; COMPUTE_PGM_RSRC2:TGID_Z_EN: 0
; COMPUTE_PGM_RSRC2:TIDIG_COMP_CNT: 0
	.section	.text._ZL36rocblas_check_numerics_vector_kernelILi256EPdEviT0_lllP24rocblas_check_numerics_s,"axG",@progbits,_ZL36rocblas_check_numerics_vector_kernelILi256EPdEviT0_lllP24rocblas_check_numerics_s,comdat
	.globl	_ZL36rocblas_check_numerics_vector_kernelILi256EPdEviT0_lllP24rocblas_check_numerics_s ; -- Begin function _ZL36rocblas_check_numerics_vector_kernelILi256EPdEviT0_lllP24rocblas_check_numerics_s
	.p2align	8
	.type	_ZL36rocblas_check_numerics_vector_kernelILi256EPdEviT0_lllP24rocblas_check_numerics_s,@function
_ZL36rocblas_check_numerics_vector_kernelILi256EPdEviT0_lllP24rocblas_check_numerics_s: ; @_ZL36rocblas_check_numerics_vector_kernelILi256EPdEviT0_lllP24rocblas_check_numerics_s
; %bb.0:
	s_load_dword s0, s[4:5], 0x0
	s_load_dword s2, s[4:5], 0x3c
	v_mov_b32_e32 v2, 0
	s_waitcnt lgkmcnt(0)
	s_ashr_i32 s1, s0, 31
	s_and_b32 s2, s2, 0xffff
	s_mul_i32 s6, s6, s2
	v_add_u32_e32 v1, s6, v0
	v_cmp_gt_i64_e32 vcc, s[0:1], v[1:2]
	s_and_saveexec_b64 s[0:1], vcc
	s_cbranch_execz .LBB4_10
; %bb.1:
	s_load_dwordx8 s[8:15], s[4:5], 0x8
	s_load_dwordx2 s[2:3], s[4:5], 0x28
	s_waitcnt lgkmcnt(0)
	s_mul_i32 s1, s15, s7
	s_mul_hi_u32 s4, s14, s7
	s_add_i32 s1, s4, s1
	v_mad_u64_u32 v[3:4], s[4:5], s12, v1, 0
	s_mul_i32 s0, s14, s7
	s_lshl_b64 s[0:1], s[0:1], 3
	s_add_u32 s4, s8, s0
	v_mov_b32_e32 v0, v4
	s_addc_u32 s5, s9, s1
	v_mad_u64_u32 v[0:1], s[0:1], s13, v1, v[0:1]
	s_lshl_b64 s[0:1], s[10:11], 3
	s_add_u32 s0, s4, s0
	v_mov_b32_e32 v4, v0
	v_lshlrev_b64 v[0:1], 3, v[3:4]
	s_addc_u32 s1, s5, s1
	v_mov_b32_e32 v4, s1
	v_add_co_u32_e32 v3, vcc, s0, v0
	v_addc_co_u32_e32 v4, vcc, v4, v1, vcc
	global_load_dwordx2 v[0:1], v[3:4], off
	global_load_ubyte v5, v2, s[2:3] offset:1
	s_waitcnt vmcnt(1)
	v_cmp_eq_f64_e32 vcc, 0, v[0:1]
	s_waitcnt vmcnt(0)
	v_readfirstlane_b32 s0, v5
	s_bitcmp1_b32 s0, 0
	s_cselect_b64 s[0:1], -1, 0
	s_xor_b64 s[0:1], s[0:1], -1
	s_and_b64 s[4:5], s[0:1], vcc
	s_and_saveexec_b64 s[0:1], s[4:5]
	s_cbranch_execz .LBB4_3
; %bb.2:
	v_mov_b32_e32 v2, 0
	v_mov_b32_e32 v3, 1
	global_store_byte v2, v3, s[2:3] offset:1
.LBB4_3:
	s_or_b64 exec, exec, s[0:1]
	v_mov_b32_e32 v2, 0
	global_load_ubyte v3, v2, s[2:3]
	v_cmp_u_f64_e32 vcc, v[0:1], v[0:1]
	s_waitcnt vmcnt(0)
	v_readfirstlane_b32 s0, v3
	s_bitcmp1_b32 s0, 0
	s_cselect_b64 s[0:1], -1, 0
	s_xor_b64 s[0:1], s[0:1], -1
	s_and_b64 s[4:5], s[0:1], vcc
	s_and_saveexec_b64 s[0:1], s[4:5]
	s_cbranch_execz .LBB4_5
; %bb.4:
	v_mov_b32_e32 v3, 1
	global_store_byte v2, v3, s[2:3]
.LBB4_5:
	s_or_b64 exec, exec, s[0:1]
	global_load_ubyte v2, v2, s[2:3] offset:2
	s_movk_i32 s0, 0x204
	v_cmp_class_f64_e64 s[0:1], v[0:1], s0
	s_waitcnt vmcnt(0)
	v_readfirstlane_b32 s4, v2
	s_bitcmp1_b32 s4, 0
	s_cselect_b64 s[4:5], -1, 0
	s_xor_b64 s[4:5], s[4:5], -1
	s_and_b64 s[4:5], s[4:5], s[0:1]
	s_and_saveexec_b64 s[0:1], s[4:5]
	s_cbranch_execz .LBB4_7
; %bb.6:
	v_mov_b32_e32 v2, 0
	v_mov_b32_e32 v3, 1
	global_store_byte v2, v3, s[2:3] offset:2
.LBB4_7:
	s_or_b64 exec, exec, s[0:1]
	v_mov_b32_e32 v2, 0
	global_load_ubyte v2, v2, s[2:3] offset:3
	s_waitcnt vmcnt(0)
	v_and_b32_e32 v2, 1, v2
	v_cmp_eq_u32_e32 vcc, 1, v2
	s_cbranch_vccnz .LBB4_10
; %bb.8:
	v_cmp_gt_f64_e32 vcc, 0, v[0:1]
	v_xor_b32_e32 v2, 0x80000000, v1
	s_mov_b32 s0, 0
	s_mov_b32 s1, 0x100000
	v_cndmask_b32_e32 v1, v1, v2, vcc
	v_cmp_le_f64_e32 vcc, 1, v[0:1]
	v_cmp_gt_f64_e64 s[0:1], s[0:1], v[0:1]
	s_and_b64 s[0:1], vcc, s[0:1]
	s_and_b64 exec, exec, s[0:1]
	s_cbranch_execz .LBB4_10
; %bb.9:
	v_mov_b32_e32 v0, 0
	v_mov_b32_e32 v1, 1
	global_store_byte v0, v1, s[2:3] offset:3
.LBB4_10:
	s_endpgm
	.section	.rodata,"a",@progbits
	.p2align	6, 0x0
	.amdhsa_kernel _ZL36rocblas_check_numerics_vector_kernelILi256EPdEviT0_lllP24rocblas_check_numerics_s
		.amdhsa_group_segment_fixed_size 0
		.amdhsa_private_segment_fixed_size 0
		.amdhsa_kernarg_size 304
		.amdhsa_user_sgpr_count 6
		.amdhsa_user_sgpr_private_segment_buffer 1
		.amdhsa_user_sgpr_dispatch_ptr 0
		.amdhsa_user_sgpr_queue_ptr 0
		.amdhsa_user_sgpr_kernarg_segment_ptr 1
		.amdhsa_user_sgpr_dispatch_id 0
		.amdhsa_user_sgpr_flat_scratch_init 0
		.amdhsa_user_sgpr_private_segment_size 0
		.amdhsa_uses_dynamic_stack 0
		.amdhsa_system_sgpr_private_segment_wavefront_offset 0
		.amdhsa_system_sgpr_workgroup_id_x 1
		.amdhsa_system_sgpr_workgroup_id_y 1
		.amdhsa_system_sgpr_workgroup_id_z 0
		.amdhsa_system_sgpr_workgroup_info 0
		.amdhsa_system_vgpr_workitem_id 0
		.amdhsa_next_free_vgpr 6
		.amdhsa_next_free_sgpr 16
		.amdhsa_reserve_vcc 1
		.amdhsa_reserve_flat_scratch 0
		.amdhsa_float_round_mode_32 0
		.amdhsa_float_round_mode_16_64 0
		.amdhsa_float_denorm_mode_32 3
		.amdhsa_float_denorm_mode_16_64 3
		.amdhsa_dx10_clamp 1
		.amdhsa_ieee_mode 1
		.amdhsa_fp16_overflow 0
		.amdhsa_exception_fp_ieee_invalid_op 0
		.amdhsa_exception_fp_denorm_src 0
		.amdhsa_exception_fp_ieee_div_zero 0
		.amdhsa_exception_fp_ieee_overflow 0
		.amdhsa_exception_fp_ieee_underflow 0
		.amdhsa_exception_fp_ieee_inexact 0
		.amdhsa_exception_int_div_zero 0
	.end_amdhsa_kernel
	.section	.text._ZL36rocblas_check_numerics_vector_kernelILi256EPdEviT0_lllP24rocblas_check_numerics_s,"axG",@progbits,_ZL36rocblas_check_numerics_vector_kernelILi256EPdEviT0_lllP24rocblas_check_numerics_s,comdat
.Lfunc_end4:
	.size	_ZL36rocblas_check_numerics_vector_kernelILi256EPdEviT0_lllP24rocblas_check_numerics_s, .Lfunc_end4-_ZL36rocblas_check_numerics_vector_kernelILi256EPdEviT0_lllP24rocblas_check_numerics_s
                                        ; -- End function
	.set _ZL36rocblas_check_numerics_vector_kernelILi256EPdEviT0_lllP24rocblas_check_numerics_s.num_vgpr, 6
	.set _ZL36rocblas_check_numerics_vector_kernelILi256EPdEviT0_lllP24rocblas_check_numerics_s.num_agpr, 0
	.set _ZL36rocblas_check_numerics_vector_kernelILi256EPdEviT0_lllP24rocblas_check_numerics_s.numbered_sgpr, 16
	.set _ZL36rocblas_check_numerics_vector_kernelILi256EPdEviT0_lllP24rocblas_check_numerics_s.num_named_barrier, 0
	.set _ZL36rocblas_check_numerics_vector_kernelILi256EPdEviT0_lllP24rocblas_check_numerics_s.private_seg_size, 0
	.set _ZL36rocblas_check_numerics_vector_kernelILi256EPdEviT0_lllP24rocblas_check_numerics_s.uses_vcc, 1
	.set _ZL36rocblas_check_numerics_vector_kernelILi256EPdEviT0_lllP24rocblas_check_numerics_s.uses_flat_scratch, 0
	.set _ZL36rocblas_check_numerics_vector_kernelILi256EPdEviT0_lllP24rocblas_check_numerics_s.has_dyn_sized_stack, 0
	.set _ZL36rocblas_check_numerics_vector_kernelILi256EPdEviT0_lllP24rocblas_check_numerics_s.has_recursion, 0
	.set _ZL36rocblas_check_numerics_vector_kernelILi256EPdEviT0_lllP24rocblas_check_numerics_s.has_indirect_call, 0
	.section	.AMDGPU.csdata,"",@progbits
; Kernel info:
; codeLenInByte = 472
; TotalNumSgprs: 20
; NumVgprs: 6
; ScratchSize: 0
; MemoryBound: 0
; FloatMode: 240
; IeeeMode: 1
; LDSByteSize: 0 bytes/workgroup (compile time only)
; SGPRBlocks: 2
; VGPRBlocks: 1
; NumSGPRsForWavesPerEU: 20
; NumVGPRsForWavesPerEU: 6
; Occupancy: 10
; WaveLimiterHint : 0
; COMPUTE_PGM_RSRC2:SCRATCH_EN: 0
; COMPUTE_PGM_RSRC2:USER_SGPR: 6
; COMPUTE_PGM_RSRC2:TRAP_HANDLER: 0
; COMPUTE_PGM_RSRC2:TGID_X_EN: 1
; COMPUTE_PGM_RSRC2:TGID_Y_EN: 1
; COMPUTE_PGM_RSRC2:TGID_Z_EN: 0
; COMPUTE_PGM_RSRC2:TIDIG_COMP_CNT: 0
	.section	.text._ZL36rocblas_check_numerics_vector_kernelILi256EPKPdEviT0_lllP24rocblas_check_numerics_s,"axG",@progbits,_ZL36rocblas_check_numerics_vector_kernelILi256EPKPdEviT0_lllP24rocblas_check_numerics_s,comdat
	.globl	_ZL36rocblas_check_numerics_vector_kernelILi256EPKPdEviT0_lllP24rocblas_check_numerics_s ; -- Begin function _ZL36rocblas_check_numerics_vector_kernelILi256EPKPdEviT0_lllP24rocblas_check_numerics_s
	.p2align	8
	.type	_ZL36rocblas_check_numerics_vector_kernelILi256EPKPdEviT0_lllP24rocblas_check_numerics_s,@function
_ZL36rocblas_check_numerics_vector_kernelILi256EPKPdEviT0_lllP24rocblas_check_numerics_s: ; @_ZL36rocblas_check_numerics_vector_kernelILi256EPKPdEviT0_lllP24rocblas_check_numerics_s
; %bb.0:
	s_load_dword s2, s[4:5], 0x0
	s_load_dword s1, s[4:5], 0x3c
	v_mov_b32_e32 v2, 0
	s_waitcnt lgkmcnt(0)
	s_ashr_i32 s3, s2, 31
	s_and_b32 s1, s1, 0xffff
	s_mul_i32 s6, s6, s1
	v_add_u32_e32 v1, s6, v0
	v_cmp_gt_i64_e32 vcc, s[2:3], v[1:2]
	s_and_saveexec_b64 s[2:3], vcc
	s_cbranch_execz .LBB5_10
; %bb.1:
	s_mov_b32 s0, s7
	s_load_dwordx4 s[8:11], s[4:5], 0x8
	s_load_dwordx2 s[6:7], s[4:5], 0x18
	s_load_dwordx2 s[2:3], s[4:5], 0x28
	s_mov_b32 s1, 0
	s_lshl_b64 s[0:1], s[0:1], 3
	s_waitcnt lgkmcnt(0)
	s_add_u32 s0, s8, s0
	v_mad_u64_u32 v[3:4], s[4:5], s6, v1, 0
	s_addc_u32 s1, s9, s1
	s_load_dwordx2 s[0:1], s[0:1], 0x0
	v_mov_b32_e32 v0, v4
	v_mad_u64_u32 v[0:1], s[4:5], s7, v1, v[0:1]
	s_lshl_b64 s[4:5], s[10:11], 3
	s_waitcnt lgkmcnt(0)
	s_add_u32 s0, s0, s4
	v_mov_b32_e32 v4, v0
	v_lshlrev_b64 v[0:1], 3, v[3:4]
	s_addc_u32 s1, s1, s5
	v_mov_b32_e32 v4, s1
	v_add_co_u32_e32 v3, vcc, s0, v0
	v_addc_co_u32_e32 v4, vcc, v4, v1, vcc
	flat_load_dwordx2 v[0:1], v[3:4]
	global_load_ubyte v5, v2, s[2:3] offset:1
	s_waitcnt vmcnt(0) lgkmcnt(0)
	v_cmp_eq_f64_e32 vcc, 0, v[0:1]
	v_readfirstlane_b32 s0, v5
	s_bitcmp1_b32 s0, 0
	s_cselect_b64 s[0:1], -1, 0
	s_xor_b64 s[0:1], s[0:1], -1
	s_and_b64 s[4:5], s[0:1], vcc
	s_and_saveexec_b64 s[0:1], s[4:5]
	s_cbranch_execz .LBB5_3
; %bb.2:
	v_mov_b32_e32 v2, 0
	v_mov_b32_e32 v3, 1
	global_store_byte v2, v3, s[2:3] offset:1
.LBB5_3:
	s_or_b64 exec, exec, s[0:1]
	v_mov_b32_e32 v2, 0
	global_load_ubyte v3, v2, s[2:3]
	v_cmp_u_f64_e32 vcc, v[0:1], v[0:1]
	s_waitcnt vmcnt(0)
	v_readfirstlane_b32 s0, v3
	s_bitcmp1_b32 s0, 0
	s_cselect_b64 s[0:1], -1, 0
	s_xor_b64 s[0:1], s[0:1], -1
	s_and_b64 s[4:5], s[0:1], vcc
	s_and_saveexec_b64 s[0:1], s[4:5]
	s_cbranch_execz .LBB5_5
; %bb.4:
	v_mov_b32_e32 v3, 1
	global_store_byte v2, v3, s[2:3]
.LBB5_5:
	s_or_b64 exec, exec, s[0:1]
	global_load_ubyte v2, v2, s[2:3] offset:2
	s_movk_i32 s0, 0x204
	v_cmp_class_f64_e64 s[0:1], v[0:1], s0
	s_waitcnt vmcnt(0)
	v_readfirstlane_b32 s4, v2
	s_bitcmp1_b32 s4, 0
	s_cselect_b64 s[4:5], -1, 0
	s_xor_b64 s[4:5], s[4:5], -1
	s_and_b64 s[4:5], s[4:5], s[0:1]
	s_and_saveexec_b64 s[0:1], s[4:5]
	s_cbranch_execz .LBB5_7
; %bb.6:
	v_mov_b32_e32 v2, 0
	v_mov_b32_e32 v3, 1
	global_store_byte v2, v3, s[2:3] offset:2
.LBB5_7:
	s_or_b64 exec, exec, s[0:1]
	v_mov_b32_e32 v2, 0
	global_load_ubyte v2, v2, s[2:3] offset:3
	s_waitcnt vmcnt(0)
	v_and_b32_e32 v2, 1, v2
	v_cmp_eq_u32_e32 vcc, 1, v2
	s_cbranch_vccnz .LBB5_10
; %bb.8:
	v_cmp_gt_f64_e32 vcc, 0, v[0:1]
	v_xor_b32_e32 v2, 0x80000000, v1
	s_mov_b32 s0, 0
	s_mov_b32 s1, 0x100000
	v_cndmask_b32_e32 v1, v1, v2, vcc
	v_cmp_le_f64_e32 vcc, 1, v[0:1]
	v_cmp_gt_f64_e64 s[0:1], s[0:1], v[0:1]
	s_and_b64 s[0:1], vcc, s[0:1]
	s_and_b64 exec, exec, s[0:1]
	s_cbranch_execz .LBB5_10
; %bb.9:
	v_mov_b32_e32 v0, 0
	v_mov_b32_e32 v1, 1
	global_store_byte v0, v1, s[2:3] offset:3
.LBB5_10:
	s_endpgm
	.section	.rodata,"a",@progbits
	.p2align	6, 0x0
	.amdhsa_kernel _ZL36rocblas_check_numerics_vector_kernelILi256EPKPdEviT0_lllP24rocblas_check_numerics_s
		.amdhsa_group_segment_fixed_size 0
		.amdhsa_private_segment_fixed_size 0
		.amdhsa_kernarg_size 304
		.amdhsa_user_sgpr_count 6
		.amdhsa_user_sgpr_private_segment_buffer 1
		.amdhsa_user_sgpr_dispatch_ptr 0
		.amdhsa_user_sgpr_queue_ptr 0
		.amdhsa_user_sgpr_kernarg_segment_ptr 1
		.amdhsa_user_sgpr_dispatch_id 0
		.amdhsa_user_sgpr_flat_scratch_init 0
		.amdhsa_user_sgpr_private_segment_size 0
		.amdhsa_uses_dynamic_stack 0
		.amdhsa_system_sgpr_private_segment_wavefront_offset 0
		.amdhsa_system_sgpr_workgroup_id_x 1
		.amdhsa_system_sgpr_workgroup_id_y 1
		.amdhsa_system_sgpr_workgroup_id_z 0
		.amdhsa_system_sgpr_workgroup_info 0
		.amdhsa_system_vgpr_workitem_id 0
		.amdhsa_next_free_vgpr 6
		.amdhsa_next_free_sgpr 12
		.amdhsa_reserve_vcc 1
		.amdhsa_reserve_flat_scratch 0
		.amdhsa_float_round_mode_32 0
		.amdhsa_float_round_mode_16_64 0
		.amdhsa_float_denorm_mode_32 3
		.amdhsa_float_denorm_mode_16_64 3
		.amdhsa_dx10_clamp 1
		.amdhsa_ieee_mode 1
		.amdhsa_fp16_overflow 0
		.amdhsa_exception_fp_ieee_invalid_op 0
		.amdhsa_exception_fp_denorm_src 0
		.amdhsa_exception_fp_ieee_div_zero 0
		.amdhsa_exception_fp_ieee_overflow 0
		.amdhsa_exception_fp_ieee_underflow 0
		.amdhsa_exception_fp_ieee_inexact 0
		.amdhsa_exception_int_div_zero 0
	.end_amdhsa_kernel
	.section	.text._ZL36rocblas_check_numerics_vector_kernelILi256EPKPdEviT0_lllP24rocblas_check_numerics_s,"axG",@progbits,_ZL36rocblas_check_numerics_vector_kernelILi256EPKPdEviT0_lllP24rocblas_check_numerics_s,comdat
.Lfunc_end5:
	.size	_ZL36rocblas_check_numerics_vector_kernelILi256EPKPdEviT0_lllP24rocblas_check_numerics_s, .Lfunc_end5-_ZL36rocblas_check_numerics_vector_kernelILi256EPKPdEviT0_lllP24rocblas_check_numerics_s
                                        ; -- End function
	.set _ZL36rocblas_check_numerics_vector_kernelILi256EPKPdEviT0_lllP24rocblas_check_numerics_s.num_vgpr, 6
	.set _ZL36rocblas_check_numerics_vector_kernelILi256EPKPdEviT0_lllP24rocblas_check_numerics_s.num_agpr, 0
	.set _ZL36rocblas_check_numerics_vector_kernelILi256EPKPdEviT0_lllP24rocblas_check_numerics_s.numbered_sgpr, 12
	.set _ZL36rocblas_check_numerics_vector_kernelILi256EPKPdEviT0_lllP24rocblas_check_numerics_s.num_named_barrier, 0
	.set _ZL36rocblas_check_numerics_vector_kernelILi256EPKPdEviT0_lllP24rocblas_check_numerics_s.private_seg_size, 0
	.set _ZL36rocblas_check_numerics_vector_kernelILi256EPKPdEviT0_lllP24rocblas_check_numerics_s.uses_vcc, 1
	.set _ZL36rocblas_check_numerics_vector_kernelILi256EPKPdEviT0_lllP24rocblas_check_numerics_s.uses_flat_scratch, 0
	.set _ZL36rocblas_check_numerics_vector_kernelILi256EPKPdEviT0_lllP24rocblas_check_numerics_s.has_dyn_sized_stack, 0
	.set _ZL36rocblas_check_numerics_vector_kernelILi256EPKPdEviT0_lllP24rocblas_check_numerics_s.has_recursion, 0
	.set _ZL36rocblas_check_numerics_vector_kernelILi256EPKPdEviT0_lllP24rocblas_check_numerics_s.has_indirect_call, 0
	.section	.AMDGPU.csdata,"",@progbits
; Kernel info:
; codeLenInByte = 480
; TotalNumSgprs: 16
; NumVgprs: 6
; ScratchSize: 0
; MemoryBound: 0
; FloatMode: 240
; IeeeMode: 1
; LDSByteSize: 0 bytes/workgroup (compile time only)
; SGPRBlocks: 1
; VGPRBlocks: 1
; NumSGPRsForWavesPerEU: 16
; NumVGPRsForWavesPerEU: 6
; Occupancy: 10
; WaveLimiterHint : 1
; COMPUTE_PGM_RSRC2:SCRATCH_EN: 0
; COMPUTE_PGM_RSRC2:USER_SGPR: 6
; COMPUTE_PGM_RSRC2:TRAP_HANDLER: 0
; COMPUTE_PGM_RSRC2:TGID_X_EN: 1
; COMPUTE_PGM_RSRC2:TGID_Y_EN: 1
; COMPUTE_PGM_RSRC2:TGID_Z_EN: 0
; COMPUTE_PGM_RSRC2:TIDIG_COMP_CNT: 0
	.section	.text._ZL36rocblas_check_numerics_vector_kernelILi256EPKdEviT0_lllP24rocblas_check_numerics_s,"axG",@progbits,_ZL36rocblas_check_numerics_vector_kernelILi256EPKdEviT0_lllP24rocblas_check_numerics_s,comdat
	.globl	_ZL36rocblas_check_numerics_vector_kernelILi256EPKdEviT0_lllP24rocblas_check_numerics_s ; -- Begin function _ZL36rocblas_check_numerics_vector_kernelILi256EPKdEviT0_lllP24rocblas_check_numerics_s
	.p2align	8
	.type	_ZL36rocblas_check_numerics_vector_kernelILi256EPKdEviT0_lllP24rocblas_check_numerics_s,@function
_ZL36rocblas_check_numerics_vector_kernelILi256EPKdEviT0_lllP24rocblas_check_numerics_s: ; @_ZL36rocblas_check_numerics_vector_kernelILi256EPKdEviT0_lllP24rocblas_check_numerics_s
; %bb.0:
	s_load_dword s0, s[4:5], 0x0
	s_load_dword s2, s[4:5], 0x3c
	v_mov_b32_e32 v2, 0
	s_waitcnt lgkmcnt(0)
	s_ashr_i32 s1, s0, 31
	s_and_b32 s2, s2, 0xffff
	s_mul_i32 s6, s6, s2
	v_add_u32_e32 v1, s6, v0
	v_cmp_gt_i64_e32 vcc, s[0:1], v[1:2]
	s_and_saveexec_b64 s[0:1], vcc
	s_cbranch_execz .LBB6_10
; %bb.1:
	s_load_dwordx8 s[8:15], s[4:5], 0x8
	s_load_dwordx2 s[2:3], s[4:5], 0x28
	s_waitcnt lgkmcnt(0)
	s_mul_i32 s1, s15, s7
	s_mul_hi_u32 s4, s14, s7
	s_add_i32 s1, s4, s1
	v_mad_u64_u32 v[3:4], s[4:5], s12, v1, 0
	s_mul_i32 s0, s14, s7
	s_lshl_b64 s[0:1], s[0:1], 3
	s_add_u32 s4, s8, s0
	v_mov_b32_e32 v0, v4
	s_addc_u32 s5, s9, s1
	v_mad_u64_u32 v[0:1], s[0:1], s13, v1, v[0:1]
	s_lshl_b64 s[0:1], s[10:11], 3
	s_add_u32 s0, s4, s0
	v_mov_b32_e32 v4, v0
	v_lshlrev_b64 v[0:1], 3, v[3:4]
	s_addc_u32 s1, s5, s1
	v_mov_b32_e32 v4, s1
	v_add_co_u32_e32 v3, vcc, s0, v0
	v_addc_co_u32_e32 v4, vcc, v4, v1, vcc
	global_load_dwordx2 v[0:1], v[3:4], off
	global_load_ubyte v5, v2, s[2:3] offset:1
	s_waitcnt vmcnt(1)
	v_cmp_eq_f64_e32 vcc, 0, v[0:1]
	s_waitcnt vmcnt(0)
	v_readfirstlane_b32 s0, v5
	s_bitcmp1_b32 s0, 0
	s_cselect_b64 s[0:1], -1, 0
	s_xor_b64 s[0:1], s[0:1], -1
	s_and_b64 s[4:5], s[0:1], vcc
	s_and_saveexec_b64 s[0:1], s[4:5]
	s_cbranch_execz .LBB6_3
; %bb.2:
	v_mov_b32_e32 v2, 0
	v_mov_b32_e32 v3, 1
	global_store_byte v2, v3, s[2:3] offset:1
.LBB6_3:
	s_or_b64 exec, exec, s[0:1]
	v_mov_b32_e32 v2, 0
	global_load_ubyte v3, v2, s[2:3]
	v_cmp_u_f64_e32 vcc, v[0:1], v[0:1]
	s_waitcnt vmcnt(0)
	v_readfirstlane_b32 s0, v3
	s_bitcmp1_b32 s0, 0
	s_cselect_b64 s[0:1], -1, 0
	s_xor_b64 s[0:1], s[0:1], -1
	s_and_b64 s[4:5], s[0:1], vcc
	s_and_saveexec_b64 s[0:1], s[4:5]
	s_cbranch_execz .LBB6_5
; %bb.4:
	v_mov_b32_e32 v3, 1
	global_store_byte v2, v3, s[2:3]
.LBB6_5:
	s_or_b64 exec, exec, s[0:1]
	global_load_ubyte v2, v2, s[2:3] offset:2
	s_movk_i32 s0, 0x204
	v_cmp_class_f64_e64 s[0:1], v[0:1], s0
	s_waitcnt vmcnt(0)
	v_readfirstlane_b32 s4, v2
	s_bitcmp1_b32 s4, 0
	s_cselect_b64 s[4:5], -1, 0
	s_xor_b64 s[4:5], s[4:5], -1
	s_and_b64 s[4:5], s[4:5], s[0:1]
	s_and_saveexec_b64 s[0:1], s[4:5]
	s_cbranch_execz .LBB6_7
; %bb.6:
	v_mov_b32_e32 v2, 0
	v_mov_b32_e32 v3, 1
	global_store_byte v2, v3, s[2:3] offset:2
.LBB6_7:
	s_or_b64 exec, exec, s[0:1]
	v_mov_b32_e32 v2, 0
	global_load_ubyte v2, v2, s[2:3] offset:3
	s_waitcnt vmcnt(0)
	v_and_b32_e32 v2, 1, v2
	v_cmp_eq_u32_e32 vcc, 1, v2
	s_cbranch_vccnz .LBB6_10
; %bb.8:
	v_cmp_gt_f64_e32 vcc, 0, v[0:1]
	v_xor_b32_e32 v2, 0x80000000, v1
	s_mov_b32 s0, 0
	s_mov_b32 s1, 0x100000
	v_cndmask_b32_e32 v1, v1, v2, vcc
	v_cmp_le_f64_e32 vcc, 1, v[0:1]
	v_cmp_gt_f64_e64 s[0:1], s[0:1], v[0:1]
	s_and_b64 s[0:1], vcc, s[0:1]
	s_and_b64 exec, exec, s[0:1]
	s_cbranch_execz .LBB6_10
; %bb.9:
	v_mov_b32_e32 v0, 0
	v_mov_b32_e32 v1, 1
	global_store_byte v0, v1, s[2:3] offset:3
.LBB6_10:
	s_endpgm
	.section	.rodata,"a",@progbits
	.p2align	6, 0x0
	.amdhsa_kernel _ZL36rocblas_check_numerics_vector_kernelILi256EPKdEviT0_lllP24rocblas_check_numerics_s
		.amdhsa_group_segment_fixed_size 0
		.amdhsa_private_segment_fixed_size 0
		.amdhsa_kernarg_size 304
		.amdhsa_user_sgpr_count 6
		.amdhsa_user_sgpr_private_segment_buffer 1
		.amdhsa_user_sgpr_dispatch_ptr 0
		.amdhsa_user_sgpr_queue_ptr 0
		.amdhsa_user_sgpr_kernarg_segment_ptr 1
		.amdhsa_user_sgpr_dispatch_id 0
		.amdhsa_user_sgpr_flat_scratch_init 0
		.amdhsa_user_sgpr_private_segment_size 0
		.amdhsa_uses_dynamic_stack 0
		.amdhsa_system_sgpr_private_segment_wavefront_offset 0
		.amdhsa_system_sgpr_workgroup_id_x 1
		.amdhsa_system_sgpr_workgroup_id_y 1
		.amdhsa_system_sgpr_workgroup_id_z 0
		.amdhsa_system_sgpr_workgroup_info 0
		.amdhsa_system_vgpr_workitem_id 0
		.amdhsa_next_free_vgpr 6
		.amdhsa_next_free_sgpr 16
		.amdhsa_reserve_vcc 1
		.amdhsa_reserve_flat_scratch 0
		.amdhsa_float_round_mode_32 0
		.amdhsa_float_round_mode_16_64 0
		.amdhsa_float_denorm_mode_32 3
		.amdhsa_float_denorm_mode_16_64 3
		.amdhsa_dx10_clamp 1
		.amdhsa_ieee_mode 1
		.amdhsa_fp16_overflow 0
		.amdhsa_exception_fp_ieee_invalid_op 0
		.amdhsa_exception_fp_denorm_src 0
		.amdhsa_exception_fp_ieee_div_zero 0
		.amdhsa_exception_fp_ieee_overflow 0
		.amdhsa_exception_fp_ieee_underflow 0
		.amdhsa_exception_fp_ieee_inexact 0
		.amdhsa_exception_int_div_zero 0
	.end_amdhsa_kernel
	.section	.text._ZL36rocblas_check_numerics_vector_kernelILi256EPKdEviT0_lllP24rocblas_check_numerics_s,"axG",@progbits,_ZL36rocblas_check_numerics_vector_kernelILi256EPKdEviT0_lllP24rocblas_check_numerics_s,comdat
.Lfunc_end6:
	.size	_ZL36rocblas_check_numerics_vector_kernelILi256EPKdEviT0_lllP24rocblas_check_numerics_s, .Lfunc_end6-_ZL36rocblas_check_numerics_vector_kernelILi256EPKdEviT0_lllP24rocblas_check_numerics_s
                                        ; -- End function
	.set _ZL36rocblas_check_numerics_vector_kernelILi256EPKdEviT0_lllP24rocblas_check_numerics_s.num_vgpr, 6
	.set _ZL36rocblas_check_numerics_vector_kernelILi256EPKdEviT0_lllP24rocblas_check_numerics_s.num_agpr, 0
	.set _ZL36rocblas_check_numerics_vector_kernelILi256EPKdEviT0_lllP24rocblas_check_numerics_s.numbered_sgpr, 16
	.set _ZL36rocblas_check_numerics_vector_kernelILi256EPKdEviT0_lllP24rocblas_check_numerics_s.num_named_barrier, 0
	.set _ZL36rocblas_check_numerics_vector_kernelILi256EPKdEviT0_lllP24rocblas_check_numerics_s.private_seg_size, 0
	.set _ZL36rocblas_check_numerics_vector_kernelILi256EPKdEviT0_lllP24rocblas_check_numerics_s.uses_vcc, 1
	.set _ZL36rocblas_check_numerics_vector_kernelILi256EPKdEviT0_lllP24rocblas_check_numerics_s.uses_flat_scratch, 0
	.set _ZL36rocblas_check_numerics_vector_kernelILi256EPKdEviT0_lllP24rocblas_check_numerics_s.has_dyn_sized_stack, 0
	.set _ZL36rocblas_check_numerics_vector_kernelILi256EPKdEviT0_lllP24rocblas_check_numerics_s.has_recursion, 0
	.set _ZL36rocblas_check_numerics_vector_kernelILi256EPKdEviT0_lllP24rocblas_check_numerics_s.has_indirect_call, 0
	.section	.AMDGPU.csdata,"",@progbits
; Kernel info:
; codeLenInByte = 472
; TotalNumSgprs: 20
; NumVgprs: 6
; ScratchSize: 0
; MemoryBound: 0
; FloatMode: 240
; IeeeMode: 1
; LDSByteSize: 0 bytes/workgroup (compile time only)
; SGPRBlocks: 2
; VGPRBlocks: 1
; NumSGPRsForWavesPerEU: 20
; NumVGPRsForWavesPerEU: 6
; Occupancy: 10
; WaveLimiterHint : 0
; COMPUTE_PGM_RSRC2:SCRATCH_EN: 0
; COMPUTE_PGM_RSRC2:USER_SGPR: 6
; COMPUTE_PGM_RSRC2:TRAP_HANDLER: 0
; COMPUTE_PGM_RSRC2:TGID_X_EN: 1
; COMPUTE_PGM_RSRC2:TGID_Y_EN: 1
; COMPUTE_PGM_RSRC2:TGID_Z_EN: 0
; COMPUTE_PGM_RSRC2:TIDIG_COMP_CNT: 0
	.section	.text._ZL36rocblas_check_numerics_vector_kernelILi256EPKPKdEviT0_lllP24rocblas_check_numerics_s,"axG",@progbits,_ZL36rocblas_check_numerics_vector_kernelILi256EPKPKdEviT0_lllP24rocblas_check_numerics_s,comdat
	.globl	_ZL36rocblas_check_numerics_vector_kernelILi256EPKPKdEviT0_lllP24rocblas_check_numerics_s ; -- Begin function _ZL36rocblas_check_numerics_vector_kernelILi256EPKPKdEviT0_lllP24rocblas_check_numerics_s
	.p2align	8
	.type	_ZL36rocblas_check_numerics_vector_kernelILi256EPKPKdEviT0_lllP24rocblas_check_numerics_s,@function
_ZL36rocblas_check_numerics_vector_kernelILi256EPKPKdEviT0_lllP24rocblas_check_numerics_s: ; @_ZL36rocblas_check_numerics_vector_kernelILi256EPKPKdEviT0_lllP24rocblas_check_numerics_s
; %bb.0:
	s_load_dword s2, s[4:5], 0x0
	s_load_dword s1, s[4:5], 0x3c
	v_mov_b32_e32 v2, 0
	s_waitcnt lgkmcnt(0)
	s_ashr_i32 s3, s2, 31
	s_and_b32 s1, s1, 0xffff
	s_mul_i32 s6, s6, s1
	v_add_u32_e32 v1, s6, v0
	v_cmp_gt_i64_e32 vcc, s[2:3], v[1:2]
	s_and_saveexec_b64 s[2:3], vcc
	s_cbranch_execz .LBB7_10
; %bb.1:
	s_mov_b32 s0, s7
	s_load_dwordx4 s[8:11], s[4:5], 0x8
	s_load_dwordx2 s[6:7], s[4:5], 0x18
	s_load_dwordx2 s[2:3], s[4:5], 0x28
	s_mov_b32 s1, 0
	s_lshl_b64 s[0:1], s[0:1], 3
	s_waitcnt lgkmcnt(0)
	s_add_u32 s0, s8, s0
	v_mad_u64_u32 v[3:4], s[4:5], s6, v1, 0
	s_addc_u32 s1, s9, s1
	s_load_dwordx2 s[0:1], s[0:1], 0x0
	v_mov_b32_e32 v0, v4
	v_mad_u64_u32 v[0:1], s[4:5], s7, v1, v[0:1]
	s_lshl_b64 s[4:5], s[10:11], 3
	s_waitcnt lgkmcnt(0)
	s_add_u32 s0, s0, s4
	v_mov_b32_e32 v4, v0
	v_lshlrev_b64 v[0:1], 3, v[3:4]
	s_addc_u32 s1, s1, s5
	v_mov_b32_e32 v4, s1
	v_add_co_u32_e32 v3, vcc, s0, v0
	v_addc_co_u32_e32 v4, vcc, v4, v1, vcc
	flat_load_dwordx2 v[0:1], v[3:4]
	global_load_ubyte v5, v2, s[2:3] offset:1
	s_waitcnt vmcnt(0) lgkmcnt(0)
	v_cmp_eq_f64_e32 vcc, 0, v[0:1]
	v_readfirstlane_b32 s0, v5
	s_bitcmp1_b32 s0, 0
	s_cselect_b64 s[0:1], -1, 0
	s_xor_b64 s[0:1], s[0:1], -1
	s_and_b64 s[4:5], s[0:1], vcc
	s_and_saveexec_b64 s[0:1], s[4:5]
	s_cbranch_execz .LBB7_3
; %bb.2:
	v_mov_b32_e32 v2, 0
	v_mov_b32_e32 v3, 1
	global_store_byte v2, v3, s[2:3] offset:1
.LBB7_3:
	s_or_b64 exec, exec, s[0:1]
	v_mov_b32_e32 v2, 0
	global_load_ubyte v3, v2, s[2:3]
	v_cmp_u_f64_e32 vcc, v[0:1], v[0:1]
	s_waitcnt vmcnt(0)
	v_readfirstlane_b32 s0, v3
	s_bitcmp1_b32 s0, 0
	s_cselect_b64 s[0:1], -1, 0
	s_xor_b64 s[0:1], s[0:1], -1
	s_and_b64 s[4:5], s[0:1], vcc
	s_and_saveexec_b64 s[0:1], s[4:5]
	s_cbranch_execz .LBB7_5
; %bb.4:
	v_mov_b32_e32 v3, 1
	global_store_byte v2, v3, s[2:3]
.LBB7_5:
	s_or_b64 exec, exec, s[0:1]
	global_load_ubyte v2, v2, s[2:3] offset:2
	s_movk_i32 s0, 0x204
	v_cmp_class_f64_e64 s[0:1], v[0:1], s0
	s_waitcnt vmcnt(0)
	v_readfirstlane_b32 s4, v2
	s_bitcmp1_b32 s4, 0
	s_cselect_b64 s[4:5], -1, 0
	s_xor_b64 s[4:5], s[4:5], -1
	s_and_b64 s[4:5], s[4:5], s[0:1]
	s_and_saveexec_b64 s[0:1], s[4:5]
	s_cbranch_execz .LBB7_7
; %bb.6:
	v_mov_b32_e32 v2, 0
	v_mov_b32_e32 v3, 1
	global_store_byte v2, v3, s[2:3] offset:2
.LBB7_7:
	s_or_b64 exec, exec, s[0:1]
	v_mov_b32_e32 v2, 0
	global_load_ubyte v2, v2, s[2:3] offset:3
	s_waitcnt vmcnt(0)
	v_and_b32_e32 v2, 1, v2
	v_cmp_eq_u32_e32 vcc, 1, v2
	s_cbranch_vccnz .LBB7_10
; %bb.8:
	v_cmp_gt_f64_e32 vcc, 0, v[0:1]
	v_xor_b32_e32 v2, 0x80000000, v1
	s_mov_b32 s0, 0
	s_mov_b32 s1, 0x100000
	v_cndmask_b32_e32 v1, v1, v2, vcc
	v_cmp_le_f64_e32 vcc, 1, v[0:1]
	v_cmp_gt_f64_e64 s[0:1], s[0:1], v[0:1]
	s_and_b64 s[0:1], vcc, s[0:1]
	s_and_b64 exec, exec, s[0:1]
	s_cbranch_execz .LBB7_10
; %bb.9:
	v_mov_b32_e32 v0, 0
	v_mov_b32_e32 v1, 1
	global_store_byte v0, v1, s[2:3] offset:3
.LBB7_10:
	s_endpgm
	.section	.rodata,"a",@progbits
	.p2align	6, 0x0
	.amdhsa_kernel _ZL36rocblas_check_numerics_vector_kernelILi256EPKPKdEviT0_lllP24rocblas_check_numerics_s
		.amdhsa_group_segment_fixed_size 0
		.amdhsa_private_segment_fixed_size 0
		.amdhsa_kernarg_size 304
		.amdhsa_user_sgpr_count 6
		.amdhsa_user_sgpr_private_segment_buffer 1
		.amdhsa_user_sgpr_dispatch_ptr 0
		.amdhsa_user_sgpr_queue_ptr 0
		.amdhsa_user_sgpr_kernarg_segment_ptr 1
		.amdhsa_user_sgpr_dispatch_id 0
		.amdhsa_user_sgpr_flat_scratch_init 0
		.amdhsa_user_sgpr_private_segment_size 0
		.amdhsa_uses_dynamic_stack 0
		.amdhsa_system_sgpr_private_segment_wavefront_offset 0
		.amdhsa_system_sgpr_workgroup_id_x 1
		.amdhsa_system_sgpr_workgroup_id_y 1
		.amdhsa_system_sgpr_workgroup_id_z 0
		.amdhsa_system_sgpr_workgroup_info 0
		.amdhsa_system_vgpr_workitem_id 0
		.amdhsa_next_free_vgpr 6
		.amdhsa_next_free_sgpr 12
		.amdhsa_reserve_vcc 1
		.amdhsa_reserve_flat_scratch 0
		.amdhsa_float_round_mode_32 0
		.amdhsa_float_round_mode_16_64 0
		.amdhsa_float_denorm_mode_32 3
		.amdhsa_float_denorm_mode_16_64 3
		.amdhsa_dx10_clamp 1
		.amdhsa_ieee_mode 1
		.amdhsa_fp16_overflow 0
		.amdhsa_exception_fp_ieee_invalid_op 0
		.amdhsa_exception_fp_denorm_src 0
		.amdhsa_exception_fp_ieee_div_zero 0
		.amdhsa_exception_fp_ieee_overflow 0
		.amdhsa_exception_fp_ieee_underflow 0
		.amdhsa_exception_fp_ieee_inexact 0
		.amdhsa_exception_int_div_zero 0
	.end_amdhsa_kernel
	.section	.text._ZL36rocblas_check_numerics_vector_kernelILi256EPKPKdEviT0_lllP24rocblas_check_numerics_s,"axG",@progbits,_ZL36rocblas_check_numerics_vector_kernelILi256EPKPKdEviT0_lllP24rocblas_check_numerics_s,comdat
.Lfunc_end7:
	.size	_ZL36rocblas_check_numerics_vector_kernelILi256EPKPKdEviT0_lllP24rocblas_check_numerics_s, .Lfunc_end7-_ZL36rocblas_check_numerics_vector_kernelILi256EPKPKdEviT0_lllP24rocblas_check_numerics_s
                                        ; -- End function
	.set _ZL36rocblas_check_numerics_vector_kernelILi256EPKPKdEviT0_lllP24rocblas_check_numerics_s.num_vgpr, 6
	.set _ZL36rocblas_check_numerics_vector_kernelILi256EPKPKdEviT0_lllP24rocblas_check_numerics_s.num_agpr, 0
	.set _ZL36rocblas_check_numerics_vector_kernelILi256EPKPKdEviT0_lllP24rocblas_check_numerics_s.numbered_sgpr, 12
	.set _ZL36rocblas_check_numerics_vector_kernelILi256EPKPKdEviT0_lllP24rocblas_check_numerics_s.num_named_barrier, 0
	.set _ZL36rocblas_check_numerics_vector_kernelILi256EPKPKdEviT0_lllP24rocblas_check_numerics_s.private_seg_size, 0
	.set _ZL36rocblas_check_numerics_vector_kernelILi256EPKPKdEviT0_lllP24rocblas_check_numerics_s.uses_vcc, 1
	.set _ZL36rocblas_check_numerics_vector_kernelILi256EPKPKdEviT0_lllP24rocblas_check_numerics_s.uses_flat_scratch, 0
	.set _ZL36rocblas_check_numerics_vector_kernelILi256EPKPKdEviT0_lllP24rocblas_check_numerics_s.has_dyn_sized_stack, 0
	.set _ZL36rocblas_check_numerics_vector_kernelILi256EPKPKdEviT0_lllP24rocblas_check_numerics_s.has_recursion, 0
	.set _ZL36rocblas_check_numerics_vector_kernelILi256EPKPKdEviT0_lllP24rocblas_check_numerics_s.has_indirect_call, 0
	.section	.AMDGPU.csdata,"",@progbits
; Kernel info:
; codeLenInByte = 480
; TotalNumSgprs: 16
; NumVgprs: 6
; ScratchSize: 0
; MemoryBound: 0
; FloatMode: 240
; IeeeMode: 1
; LDSByteSize: 0 bytes/workgroup (compile time only)
; SGPRBlocks: 1
; VGPRBlocks: 1
; NumSGPRsForWavesPerEU: 16
; NumVGPRsForWavesPerEU: 6
; Occupancy: 10
; WaveLimiterHint : 1
; COMPUTE_PGM_RSRC2:SCRATCH_EN: 0
; COMPUTE_PGM_RSRC2:USER_SGPR: 6
; COMPUTE_PGM_RSRC2:TRAP_HANDLER: 0
; COMPUTE_PGM_RSRC2:TGID_X_EN: 1
; COMPUTE_PGM_RSRC2:TGID_Y_EN: 1
; COMPUTE_PGM_RSRC2:TGID_Z_EN: 0
; COMPUTE_PGM_RSRC2:TIDIG_COMP_CNT: 0
	.section	.text._ZL36rocblas_check_numerics_vector_kernelILi256EP19rocblas_complex_numIfEEviT0_lllP24rocblas_check_numerics_s,"axG",@progbits,_ZL36rocblas_check_numerics_vector_kernelILi256EP19rocblas_complex_numIfEEviT0_lllP24rocblas_check_numerics_s,comdat
	.globl	_ZL36rocblas_check_numerics_vector_kernelILi256EP19rocblas_complex_numIfEEviT0_lllP24rocblas_check_numerics_s ; -- Begin function _ZL36rocblas_check_numerics_vector_kernelILi256EP19rocblas_complex_numIfEEviT0_lllP24rocblas_check_numerics_s
	.p2align	8
	.type	_ZL36rocblas_check_numerics_vector_kernelILi256EP19rocblas_complex_numIfEEviT0_lllP24rocblas_check_numerics_s,@function
_ZL36rocblas_check_numerics_vector_kernelILi256EP19rocblas_complex_numIfEEviT0_lllP24rocblas_check_numerics_s: ; @_ZL36rocblas_check_numerics_vector_kernelILi256EP19rocblas_complex_numIfEEviT0_lllP24rocblas_check_numerics_s
; %bb.0:
	s_load_dword s0, s[4:5], 0x0
	s_load_dword s2, s[4:5], 0x3c
	v_mov_b32_e32 v1, 0
	s_waitcnt lgkmcnt(0)
	s_ashr_i32 s1, s0, 31
	s_and_b32 s2, s2, 0xffff
	s_mul_i32 s6, s6, s2
	v_add_u32_e32 v0, s6, v0
	v_cmp_gt_i64_e32 vcc, s[0:1], v[0:1]
	s_and_saveexec_b64 s[0:1], vcc
	s_cbranch_execz .LBB8_16
; %bb.1:
	s_load_dwordx8 s[8:15], s[4:5], 0x8
	s_load_dwordx2 s[2:3], s[4:5], 0x28
	s_waitcnt lgkmcnt(0)
	s_mul_i32 s1, s15, s7
	s_mul_hi_u32 s4, s14, s7
	s_add_i32 s1, s4, s1
	v_mad_u64_u32 v[2:3], s[4:5], s12, v0, 0
	s_mul_i32 s0, s14, s7
	s_lshl_b64 s[0:1], s[0:1], 3
	s_add_u32 s4, s8, s0
	s_addc_u32 s5, s9, s1
	v_mad_u64_u32 v[3:4], s[0:1], s13, v0, v[3:4]
	s_lshl_b64 s[0:1], s[10:11], 3
	s_add_u32 s0, s4, s0
	v_lshlrev_b64 v[2:3], 3, v[2:3]
	s_addc_u32 s1, s5, s1
	global_load_ubyte v5, v1, s[2:3] offset:1
	v_mov_b32_e32 v4, s1
	v_add_co_u32_e32 v0, vcc, s0, v2
	v_addc_co_u32_e32 v1, vcc, v4, v3, vcc
	global_load_dwordx2 v[0:1], v[0:1], off
	s_waitcnt vmcnt(1)
	v_and_b32_e32 v2, 1, v5
	v_cmp_eq_u32_e32 vcc, 1, v2
	s_cbranch_vccnz .LBB8_5
; %bb.2:
	s_waitcnt vmcnt(0)
	v_or_b32_e32 v2, v0, v1
	v_and_b32_e32 v2, 0x7fffffff, v2
	v_cmp_eq_u32_e32 vcc, 0, v2
	s_and_saveexec_b64 s[0:1], vcc
	s_cbranch_execz .LBB8_4
; %bb.3:
	v_mov_b32_e32 v2, 0
	v_mov_b32_e32 v3, 1
	global_store_byte v2, v3, s[2:3] offset:1
.LBB8_4:
	s_or_b64 exec, exec, s[0:1]
.LBB8_5:
	v_mov_b32_e32 v2, 0
	global_load_ubyte v3, v2, s[2:3]
	s_waitcnt vmcnt(0)
	v_and_b32_e32 v3, 1, v3
	v_cmp_eq_u32_e32 vcc, 1, v3
	s_cbranch_vccnz .LBB8_9
; %bb.6:
	v_cmp_u_f32_e32 vcc, v0, v1
	s_and_saveexec_b64 s[0:1], vcc
	s_cbranch_execz .LBB8_8
; %bb.7:
	v_mov_b32_e32 v3, 0
	v_mov_b32_e32 v4, 1
	global_store_byte v3, v4, s[2:3]
.LBB8_8:
	s_or_b64 exec, exec, s[0:1]
.LBB8_9:
	global_load_ubyte v2, v2, s[2:3] offset:2
	s_waitcnt vmcnt(0)
	v_and_b32_e32 v2, 1, v2
	v_cmp_eq_u32_e32 vcc, 1, v2
	s_cbranch_vccnz .LBB8_13
; %bb.10:
	s_movk_i32 s4, 0x204
	v_cmp_class_f32_e64 s[0:1], v0, s4
	v_cmp_class_f32_e64 s[4:5], v1, s4
	s_or_b64 s[4:5], s[0:1], s[4:5]
	s_and_saveexec_b64 s[0:1], s[4:5]
	s_cbranch_execz .LBB8_12
; %bb.11:
	v_mov_b32_e32 v2, 0
	v_mov_b32_e32 v3, 1
	global_store_byte v2, v3, s[2:3] offset:2
.LBB8_12:
	s_or_b64 exec, exec, s[0:1]
.LBB8_13:
	v_mov_b32_e32 v2, 0
	global_load_ubyte v2, v2, s[2:3] offset:3
	s_waitcnt vmcnt(0)
	v_and_b32_e32 v2, 1, v2
	v_cmp_eq_u32_e32 vcc, 1, v2
	s_cbranch_vccnz .LBB8_16
; %bb.14:
	v_cmp_gt_f32_e32 vcc, 0, v0
	v_cndmask_b32_e64 v0, v0, -v0, vcc
	s_mov_b32 s6, 0x800000
	v_cmp_le_f32_e32 vcc, 1, v0
	v_cmp_gt_f32_e64 s[0:1], s6, v0
	s_and_b64 s[4:5], vcc, s[0:1]
	v_cmp_gt_f32_e32 vcc, 0, v1
	v_cndmask_b32_e64 v0, v1, -v1, vcc
	v_cmp_le_f32_e32 vcc, 1, v0
	v_cmp_gt_f32_e64 s[0:1], s6, v0
	s_and_b64 s[0:1], vcc, s[0:1]
	s_or_b64 s[0:1], s[4:5], s[0:1]
	s_and_b64 exec, exec, s[0:1]
	s_cbranch_execz .LBB8_16
; %bb.15:
	v_mov_b32_e32 v0, 0
	v_mov_b32_e32 v1, 1
	global_store_byte v0, v1, s[2:3] offset:3
.LBB8_16:
	s_endpgm
	.section	.rodata,"a",@progbits
	.p2align	6, 0x0
	.amdhsa_kernel _ZL36rocblas_check_numerics_vector_kernelILi256EP19rocblas_complex_numIfEEviT0_lllP24rocblas_check_numerics_s
		.amdhsa_group_segment_fixed_size 0
		.amdhsa_private_segment_fixed_size 0
		.amdhsa_kernarg_size 304
		.amdhsa_user_sgpr_count 6
		.amdhsa_user_sgpr_private_segment_buffer 1
		.amdhsa_user_sgpr_dispatch_ptr 0
		.amdhsa_user_sgpr_queue_ptr 0
		.amdhsa_user_sgpr_kernarg_segment_ptr 1
		.amdhsa_user_sgpr_dispatch_id 0
		.amdhsa_user_sgpr_flat_scratch_init 0
		.amdhsa_user_sgpr_private_segment_size 0
		.amdhsa_uses_dynamic_stack 0
		.amdhsa_system_sgpr_private_segment_wavefront_offset 0
		.amdhsa_system_sgpr_workgroup_id_x 1
		.amdhsa_system_sgpr_workgroup_id_y 1
		.amdhsa_system_sgpr_workgroup_id_z 0
		.amdhsa_system_sgpr_workgroup_info 0
		.amdhsa_system_vgpr_workitem_id 0
		.amdhsa_next_free_vgpr 6
		.amdhsa_next_free_sgpr 16
		.amdhsa_reserve_vcc 1
		.amdhsa_reserve_flat_scratch 0
		.amdhsa_float_round_mode_32 0
		.amdhsa_float_round_mode_16_64 0
		.amdhsa_float_denorm_mode_32 3
		.amdhsa_float_denorm_mode_16_64 3
		.amdhsa_dx10_clamp 1
		.amdhsa_ieee_mode 1
		.amdhsa_fp16_overflow 0
		.amdhsa_exception_fp_ieee_invalid_op 0
		.amdhsa_exception_fp_denorm_src 0
		.amdhsa_exception_fp_ieee_div_zero 0
		.amdhsa_exception_fp_ieee_overflow 0
		.amdhsa_exception_fp_ieee_underflow 0
		.amdhsa_exception_fp_ieee_inexact 0
		.amdhsa_exception_int_div_zero 0
	.end_amdhsa_kernel
	.section	.text._ZL36rocblas_check_numerics_vector_kernelILi256EP19rocblas_complex_numIfEEviT0_lllP24rocblas_check_numerics_s,"axG",@progbits,_ZL36rocblas_check_numerics_vector_kernelILi256EP19rocblas_complex_numIfEEviT0_lllP24rocblas_check_numerics_s,comdat
.Lfunc_end8:
	.size	_ZL36rocblas_check_numerics_vector_kernelILi256EP19rocblas_complex_numIfEEviT0_lllP24rocblas_check_numerics_s, .Lfunc_end8-_ZL36rocblas_check_numerics_vector_kernelILi256EP19rocblas_complex_numIfEEviT0_lllP24rocblas_check_numerics_s
                                        ; -- End function
	.set _ZL36rocblas_check_numerics_vector_kernelILi256EP19rocblas_complex_numIfEEviT0_lllP24rocblas_check_numerics_s.num_vgpr, 6
	.set _ZL36rocblas_check_numerics_vector_kernelILi256EP19rocblas_complex_numIfEEviT0_lllP24rocblas_check_numerics_s.num_agpr, 0
	.set _ZL36rocblas_check_numerics_vector_kernelILi256EP19rocblas_complex_numIfEEviT0_lllP24rocblas_check_numerics_s.numbered_sgpr, 16
	.set _ZL36rocblas_check_numerics_vector_kernelILi256EP19rocblas_complex_numIfEEviT0_lllP24rocblas_check_numerics_s.num_named_barrier, 0
	.set _ZL36rocblas_check_numerics_vector_kernelILi256EP19rocblas_complex_numIfEEviT0_lllP24rocblas_check_numerics_s.private_seg_size, 0
	.set _ZL36rocblas_check_numerics_vector_kernelILi256EP19rocblas_complex_numIfEEviT0_lllP24rocblas_check_numerics_s.uses_vcc, 1
	.set _ZL36rocblas_check_numerics_vector_kernelILi256EP19rocblas_complex_numIfEEviT0_lllP24rocblas_check_numerics_s.uses_flat_scratch, 0
	.set _ZL36rocblas_check_numerics_vector_kernelILi256EP19rocblas_complex_numIfEEviT0_lllP24rocblas_check_numerics_s.has_dyn_sized_stack, 0
	.set _ZL36rocblas_check_numerics_vector_kernelILi256EP19rocblas_complex_numIfEEviT0_lllP24rocblas_check_numerics_s.has_recursion, 0
	.set _ZL36rocblas_check_numerics_vector_kernelILi256EP19rocblas_complex_numIfEEviT0_lllP24rocblas_check_numerics_s.has_indirect_call, 0
	.section	.AMDGPU.csdata,"",@progbits
; Kernel info:
; codeLenInByte = 492
; TotalNumSgprs: 20
; NumVgprs: 6
; ScratchSize: 0
; MemoryBound: 0
; FloatMode: 240
; IeeeMode: 1
; LDSByteSize: 0 bytes/workgroup (compile time only)
; SGPRBlocks: 2
; VGPRBlocks: 1
; NumSGPRsForWavesPerEU: 20
; NumVGPRsForWavesPerEU: 6
; Occupancy: 10
; WaveLimiterHint : 0
; COMPUTE_PGM_RSRC2:SCRATCH_EN: 0
; COMPUTE_PGM_RSRC2:USER_SGPR: 6
; COMPUTE_PGM_RSRC2:TRAP_HANDLER: 0
; COMPUTE_PGM_RSRC2:TGID_X_EN: 1
; COMPUTE_PGM_RSRC2:TGID_Y_EN: 1
; COMPUTE_PGM_RSRC2:TGID_Z_EN: 0
; COMPUTE_PGM_RSRC2:TIDIG_COMP_CNT: 0
	.section	.text._ZL36rocblas_check_numerics_vector_kernelILi256EPKP19rocblas_complex_numIfEEviT0_lllP24rocblas_check_numerics_s,"axG",@progbits,_ZL36rocblas_check_numerics_vector_kernelILi256EPKP19rocblas_complex_numIfEEviT0_lllP24rocblas_check_numerics_s,comdat
	.globl	_ZL36rocblas_check_numerics_vector_kernelILi256EPKP19rocblas_complex_numIfEEviT0_lllP24rocblas_check_numerics_s ; -- Begin function _ZL36rocblas_check_numerics_vector_kernelILi256EPKP19rocblas_complex_numIfEEviT0_lllP24rocblas_check_numerics_s
	.p2align	8
	.type	_ZL36rocblas_check_numerics_vector_kernelILi256EPKP19rocblas_complex_numIfEEviT0_lllP24rocblas_check_numerics_s,@function
_ZL36rocblas_check_numerics_vector_kernelILi256EPKP19rocblas_complex_numIfEEviT0_lllP24rocblas_check_numerics_s: ; @_ZL36rocblas_check_numerics_vector_kernelILi256EPKP19rocblas_complex_numIfEEviT0_lllP24rocblas_check_numerics_s
; %bb.0:
	s_load_dword s2, s[4:5], 0x0
	s_load_dword s1, s[4:5], 0x3c
	v_mov_b32_e32 v1, 0
	s_waitcnt lgkmcnt(0)
	s_ashr_i32 s3, s2, 31
	s_and_b32 s1, s1, 0xffff
	s_mul_i32 s6, s6, s1
	v_add_u32_e32 v0, s6, v0
	v_cmp_gt_i64_e32 vcc, s[2:3], v[0:1]
	s_and_saveexec_b64 s[2:3], vcc
	s_cbranch_execz .LBB9_16
; %bb.1:
	s_mov_b32 s0, s7
	s_load_dwordx4 s[8:11], s[4:5], 0x8
	s_load_dwordx2 s[6:7], s[4:5], 0x18
	s_load_dwordx2 s[2:3], s[4:5], 0x28
	s_mov_b32 s1, 0
	s_lshl_b64 s[0:1], s[0:1], 3
	s_waitcnt lgkmcnt(0)
	s_add_u32 s0, s8, s0
	v_mad_u64_u32 v[2:3], s[4:5], s6, v0, 0
	s_addc_u32 s1, s9, s1
	s_load_dwordx2 s[0:1], s[0:1], 0x0
	v_mad_u64_u32 v[3:4], s[4:5], s7, v0, v[3:4]
	s_lshl_b64 s[4:5], s[10:11], 3
	global_load_ubyte v5, v1, s[2:3] offset:1
	s_waitcnt lgkmcnt(0)
	s_add_u32 s0, s0, s4
	v_lshlrev_b64 v[2:3], 3, v[2:3]
	s_addc_u32 s1, s1, s5
	v_mov_b32_e32 v4, s1
	v_add_co_u32_e32 v0, vcc, s0, v2
	v_addc_co_u32_e32 v1, vcc, v4, v3, vcc
	flat_load_dwordx2 v[0:1], v[0:1]
	s_waitcnt vmcnt(0)
	v_and_b32_e32 v2, 1, v5
	v_cmp_eq_u32_e32 vcc, 1, v2
	s_cbranch_vccnz .LBB9_5
; %bb.2:
	s_waitcnt lgkmcnt(0)
	v_or_b32_e32 v2, v0, v1
	v_and_b32_e32 v2, 0x7fffffff, v2
	v_cmp_eq_u32_e32 vcc, 0, v2
	s_and_saveexec_b64 s[0:1], vcc
	s_cbranch_execz .LBB9_4
; %bb.3:
	v_mov_b32_e32 v2, 0
	v_mov_b32_e32 v3, 1
	global_store_byte v2, v3, s[2:3] offset:1
.LBB9_4:
	s_or_b64 exec, exec, s[0:1]
.LBB9_5:
	v_mov_b32_e32 v2, 0
	global_load_ubyte v3, v2, s[2:3]
	s_waitcnt vmcnt(0)
	v_and_b32_e32 v3, 1, v3
	v_cmp_eq_u32_e32 vcc, 1, v3
	s_cbranch_vccnz .LBB9_9
; %bb.6:
	s_waitcnt lgkmcnt(0)
	v_cmp_u_f32_e32 vcc, v0, v1
	s_and_saveexec_b64 s[0:1], vcc
	s_cbranch_execz .LBB9_8
; %bb.7:
	v_mov_b32_e32 v3, 0
	v_mov_b32_e32 v4, 1
	global_store_byte v3, v4, s[2:3]
.LBB9_8:
	s_or_b64 exec, exec, s[0:1]
.LBB9_9:
	global_load_ubyte v2, v2, s[2:3] offset:2
	s_waitcnt vmcnt(0)
	v_and_b32_e32 v2, 1, v2
	v_cmp_eq_u32_e32 vcc, 1, v2
	s_cbranch_vccnz .LBB9_13
; %bb.10:
	s_movk_i32 s4, 0x204
	s_waitcnt lgkmcnt(0)
	v_cmp_class_f32_e64 s[0:1], v0, s4
	v_cmp_class_f32_e64 s[4:5], v1, s4
	s_or_b64 s[4:5], s[0:1], s[4:5]
	s_and_saveexec_b64 s[0:1], s[4:5]
	s_cbranch_execz .LBB9_12
; %bb.11:
	v_mov_b32_e32 v2, 0
	v_mov_b32_e32 v3, 1
	global_store_byte v2, v3, s[2:3] offset:2
.LBB9_12:
	s_or_b64 exec, exec, s[0:1]
.LBB9_13:
	v_mov_b32_e32 v2, 0
	global_load_ubyte v2, v2, s[2:3] offset:3
	s_waitcnt vmcnt(0)
	v_and_b32_e32 v2, 1, v2
	v_cmp_eq_u32_e32 vcc, 1, v2
	s_cbranch_vccnz .LBB9_16
; %bb.14:
	s_waitcnt lgkmcnt(0)
	v_cmp_gt_f32_e32 vcc, 0, v0
	v_cndmask_b32_e64 v0, v0, -v0, vcc
	s_mov_b32 s6, 0x800000
	v_cmp_le_f32_e32 vcc, 1, v0
	v_cmp_gt_f32_e64 s[0:1], s6, v0
	s_and_b64 s[4:5], vcc, s[0:1]
	v_cmp_gt_f32_e32 vcc, 0, v1
	v_cndmask_b32_e64 v0, v1, -v1, vcc
	v_cmp_le_f32_e32 vcc, 1, v0
	v_cmp_gt_f32_e64 s[0:1], s6, v0
	s_and_b64 s[0:1], vcc, s[0:1]
	s_or_b64 s[0:1], s[4:5], s[0:1]
	s_and_b64 exec, exec, s[0:1]
	s_cbranch_execz .LBB9_16
; %bb.15:
	v_mov_b32_e32 v0, 0
	v_mov_b32_e32 v1, 1
	global_store_byte v0, v1, s[2:3] offset:3
.LBB9_16:
	s_endpgm
	.section	.rodata,"a",@progbits
	.p2align	6, 0x0
	.amdhsa_kernel _ZL36rocblas_check_numerics_vector_kernelILi256EPKP19rocblas_complex_numIfEEviT0_lllP24rocblas_check_numerics_s
		.amdhsa_group_segment_fixed_size 0
		.amdhsa_private_segment_fixed_size 0
		.amdhsa_kernarg_size 304
		.amdhsa_user_sgpr_count 6
		.amdhsa_user_sgpr_private_segment_buffer 1
		.amdhsa_user_sgpr_dispatch_ptr 0
		.amdhsa_user_sgpr_queue_ptr 0
		.amdhsa_user_sgpr_kernarg_segment_ptr 1
		.amdhsa_user_sgpr_dispatch_id 0
		.amdhsa_user_sgpr_flat_scratch_init 0
		.amdhsa_user_sgpr_private_segment_size 0
		.amdhsa_uses_dynamic_stack 0
		.amdhsa_system_sgpr_private_segment_wavefront_offset 0
		.amdhsa_system_sgpr_workgroup_id_x 1
		.amdhsa_system_sgpr_workgroup_id_y 1
		.amdhsa_system_sgpr_workgroup_id_z 0
		.amdhsa_system_sgpr_workgroup_info 0
		.amdhsa_system_vgpr_workitem_id 0
		.amdhsa_next_free_vgpr 6
		.amdhsa_next_free_sgpr 12
		.amdhsa_reserve_vcc 1
		.amdhsa_reserve_flat_scratch 0
		.amdhsa_float_round_mode_32 0
		.amdhsa_float_round_mode_16_64 0
		.amdhsa_float_denorm_mode_32 3
		.amdhsa_float_denorm_mode_16_64 3
		.amdhsa_dx10_clamp 1
		.amdhsa_ieee_mode 1
		.amdhsa_fp16_overflow 0
		.amdhsa_exception_fp_ieee_invalid_op 0
		.amdhsa_exception_fp_denorm_src 0
		.amdhsa_exception_fp_ieee_div_zero 0
		.amdhsa_exception_fp_ieee_overflow 0
		.amdhsa_exception_fp_ieee_underflow 0
		.amdhsa_exception_fp_ieee_inexact 0
		.amdhsa_exception_int_div_zero 0
	.end_amdhsa_kernel
	.section	.text._ZL36rocblas_check_numerics_vector_kernelILi256EPKP19rocblas_complex_numIfEEviT0_lllP24rocblas_check_numerics_s,"axG",@progbits,_ZL36rocblas_check_numerics_vector_kernelILi256EPKP19rocblas_complex_numIfEEviT0_lllP24rocblas_check_numerics_s,comdat
.Lfunc_end9:
	.size	_ZL36rocblas_check_numerics_vector_kernelILi256EPKP19rocblas_complex_numIfEEviT0_lllP24rocblas_check_numerics_s, .Lfunc_end9-_ZL36rocblas_check_numerics_vector_kernelILi256EPKP19rocblas_complex_numIfEEviT0_lllP24rocblas_check_numerics_s
                                        ; -- End function
	.set _ZL36rocblas_check_numerics_vector_kernelILi256EPKP19rocblas_complex_numIfEEviT0_lllP24rocblas_check_numerics_s.num_vgpr, 6
	.set _ZL36rocblas_check_numerics_vector_kernelILi256EPKP19rocblas_complex_numIfEEviT0_lllP24rocblas_check_numerics_s.num_agpr, 0
	.set _ZL36rocblas_check_numerics_vector_kernelILi256EPKP19rocblas_complex_numIfEEviT0_lllP24rocblas_check_numerics_s.numbered_sgpr, 12
	.set _ZL36rocblas_check_numerics_vector_kernelILi256EPKP19rocblas_complex_numIfEEviT0_lllP24rocblas_check_numerics_s.num_named_barrier, 0
	.set _ZL36rocblas_check_numerics_vector_kernelILi256EPKP19rocblas_complex_numIfEEviT0_lllP24rocblas_check_numerics_s.private_seg_size, 0
	.set _ZL36rocblas_check_numerics_vector_kernelILi256EPKP19rocblas_complex_numIfEEviT0_lllP24rocblas_check_numerics_s.uses_vcc, 1
	.set _ZL36rocblas_check_numerics_vector_kernelILi256EPKP19rocblas_complex_numIfEEviT0_lllP24rocblas_check_numerics_s.uses_flat_scratch, 0
	.set _ZL36rocblas_check_numerics_vector_kernelILi256EPKP19rocblas_complex_numIfEEviT0_lllP24rocblas_check_numerics_s.has_dyn_sized_stack, 0
	.set _ZL36rocblas_check_numerics_vector_kernelILi256EPKP19rocblas_complex_numIfEEviT0_lllP24rocblas_check_numerics_s.has_recursion, 0
	.set _ZL36rocblas_check_numerics_vector_kernelILi256EPKP19rocblas_complex_numIfEEviT0_lllP24rocblas_check_numerics_s.has_indirect_call, 0
	.section	.AMDGPU.csdata,"",@progbits
; Kernel info:
; codeLenInByte = 516
; TotalNumSgprs: 16
; NumVgprs: 6
; ScratchSize: 0
; MemoryBound: 0
; FloatMode: 240
; IeeeMode: 1
; LDSByteSize: 0 bytes/workgroup (compile time only)
; SGPRBlocks: 1
; VGPRBlocks: 1
; NumSGPRsForWavesPerEU: 16
; NumVGPRsForWavesPerEU: 6
; Occupancy: 10
; WaveLimiterHint : 1
; COMPUTE_PGM_RSRC2:SCRATCH_EN: 0
; COMPUTE_PGM_RSRC2:USER_SGPR: 6
; COMPUTE_PGM_RSRC2:TRAP_HANDLER: 0
; COMPUTE_PGM_RSRC2:TGID_X_EN: 1
; COMPUTE_PGM_RSRC2:TGID_Y_EN: 1
; COMPUTE_PGM_RSRC2:TGID_Z_EN: 0
; COMPUTE_PGM_RSRC2:TIDIG_COMP_CNT: 0
	.section	.text._ZL36rocblas_check_numerics_vector_kernelILi256EPK19rocblas_complex_numIfEEviT0_lllP24rocblas_check_numerics_s,"axG",@progbits,_ZL36rocblas_check_numerics_vector_kernelILi256EPK19rocblas_complex_numIfEEviT0_lllP24rocblas_check_numerics_s,comdat
	.globl	_ZL36rocblas_check_numerics_vector_kernelILi256EPK19rocblas_complex_numIfEEviT0_lllP24rocblas_check_numerics_s ; -- Begin function _ZL36rocblas_check_numerics_vector_kernelILi256EPK19rocblas_complex_numIfEEviT0_lllP24rocblas_check_numerics_s
	.p2align	8
	.type	_ZL36rocblas_check_numerics_vector_kernelILi256EPK19rocblas_complex_numIfEEviT0_lllP24rocblas_check_numerics_s,@function
_ZL36rocblas_check_numerics_vector_kernelILi256EPK19rocblas_complex_numIfEEviT0_lllP24rocblas_check_numerics_s: ; @_ZL36rocblas_check_numerics_vector_kernelILi256EPK19rocblas_complex_numIfEEviT0_lllP24rocblas_check_numerics_s
; %bb.0:
	s_load_dword s0, s[4:5], 0x0
	s_load_dword s2, s[4:5], 0x3c
	v_mov_b32_e32 v1, 0
	s_waitcnt lgkmcnt(0)
	s_ashr_i32 s1, s0, 31
	s_and_b32 s2, s2, 0xffff
	s_mul_i32 s6, s6, s2
	v_add_u32_e32 v0, s6, v0
	v_cmp_gt_i64_e32 vcc, s[0:1], v[0:1]
	s_and_saveexec_b64 s[0:1], vcc
	s_cbranch_execz .LBB10_16
; %bb.1:
	s_load_dwordx8 s[8:15], s[4:5], 0x8
	s_load_dwordx2 s[2:3], s[4:5], 0x28
	s_waitcnt lgkmcnt(0)
	s_mul_i32 s1, s15, s7
	s_mul_hi_u32 s4, s14, s7
	s_add_i32 s1, s4, s1
	v_mad_u64_u32 v[2:3], s[4:5], s12, v0, 0
	s_mul_i32 s0, s14, s7
	s_lshl_b64 s[0:1], s[0:1], 3
	s_add_u32 s4, s8, s0
	s_addc_u32 s5, s9, s1
	v_mad_u64_u32 v[3:4], s[0:1], s13, v0, v[3:4]
	s_lshl_b64 s[0:1], s[10:11], 3
	s_add_u32 s0, s4, s0
	v_lshlrev_b64 v[2:3], 3, v[2:3]
	s_addc_u32 s1, s5, s1
	global_load_ubyte v5, v1, s[2:3] offset:1
	v_mov_b32_e32 v4, s1
	v_add_co_u32_e32 v0, vcc, s0, v2
	v_addc_co_u32_e32 v1, vcc, v4, v3, vcc
	global_load_dwordx2 v[0:1], v[0:1], off
	s_waitcnt vmcnt(1)
	v_and_b32_e32 v2, 1, v5
	v_cmp_eq_u32_e32 vcc, 1, v2
	s_cbranch_vccnz .LBB10_5
; %bb.2:
	s_waitcnt vmcnt(0)
	v_or_b32_e32 v2, v0, v1
	v_and_b32_e32 v2, 0x7fffffff, v2
	v_cmp_eq_u32_e32 vcc, 0, v2
	s_and_saveexec_b64 s[0:1], vcc
	s_cbranch_execz .LBB10_4
; %bb.3:
	v_mov_b32_e32 v2, 0
	v_mov_b32_e32 v3, 1
	global_store_byte v2, v3, s[2:3] offset:1
.LBB10_4:
	s_or_b64 exec, exec, s[0:1]
.LBB10_5:
	v_mov_b32_e32 v2, 0
	global_load_ubyte v3, v2, s[2:3]
	s_waitcnt vmcnt(0)
	v_and_b32_e32 v3, 1, v3
	v_cmp_eq_u32_e32 vcc, 1, v3
	s_cbranch_vccnz .LBB10_9
; %bb.6:
	v_cmp_u_f32_e32 vcc, v0, v1
	s_and_saveexec_b64 s[0:1], vcc
	s_cbranch_execz .LBB10_8
; %bb.7:
	v_mov_b32_e32 v3, 0
	v_mov_b32_e32 v4, 1
	global_store_byte v3, v4, s[2:3]
.LBB10_8:
	s_or_b64 exec, exec, s[0:1]
.LBB10_9:
	global_load_ubyte v2, v2, s[2:3] offset:2
	s_waitcnt vmcnt(0)
	v_and_b32_e32 v2, 1, v2
	v_cmp_eq_u32_e32 vcc, 1, v2
	s_cbranch_vccnz .LBB10_13
; %bb.10:
	s_movk_i32 s4, 0x204
	v_cmp_class_f32_e64 s[0:1], v0, s4
	v_cmp_class_f32_e64 s[4:5], v1, s4
	s_or_b64 s[4:5], s[0:1], s[4:5]
	s_and_saveexec_b64 s[0:1], s[4:5]
	s_cbranch_execz .LBB10_12
; %bb.11:
	v_mov_b32_e32 v2, 0
	v_mov_b32_e32 v3, 1
	global_store_byte v2, v3, s[2:3] offset:2
.LBB10_12:
	s_or_b64 exec, exec, s[0:1]
.LBB10_13:
	v_mov_b32_e32 v2, 0
	global_load_ubyte v2, v2, s[2:3] offset:3
	s_waitcnt vmcnt(0)
	v_and_b32_e32 v2, 1, v2
	v_cmp_eq_u32_e32 vcc, 1, v2
	s_cbranch_vccnz .LBB10_16
; %bb.14:
	v_cmp_gt_f32_e32 vcc, 0, v0
	v_cndmask_b32_e64 v0, v0, -v0, vcc
	s_mov_b32 s6, 0x800000
	v_cmp_le_f32_e32 vcc, 1, v0
	v_cmp_gt_f32_e64 s[0:1], s6, v0
	s_and_b64 s[4:5], vcc, s[0:1]
	v_cmp_gt_f32_e32 vcc, 0, v1
	v_cndmask_b32_e64 v0, v1, -v1, vcc
	v_cmp_le_f32_e32 vcc, 1, v0
	v_cmp_gt_f32_e64 s[0:1], s6, v0
	s_and_b64 s[0:1], vcc, s[0:1]
	s_or_b64 s[0:1], s[4:5], s[0:1]
	s_and_b64 exec, exec, s[0:1]
	s_cbranch_execz .LBB10_16
; %bb.15:
	v_mov_b32_e32 v0, 0
	v_mov_b32_e32 v1, 1
	global_store_byte v0, v1, s[2:3] offset:3
.LBB10_16:
	s_endpgm
	.section	.rodata,"a",@progbits
	.p2align	6, 0x0
	.amdhsa_kernel _ZL36rocblas_check_numerics_vector_kernelILi256EPK19rocblas_complex_numIfEEviT0_lllP24rocblas_check_numerics_s
		.amdhsa_group_segment_fixed_size 0
		.amdhsa_private_segment_fixed_size 0
		.amdhsa_kernarg_size 304
		.amdhsa_user_sgpr_count 6
		.amdhsa_user_sgpr_private_segment_buffer 1
		.amdhsa_user_sgpr_dispatch_ptr 0
		.amdhsa_user_sgpr_queue_ptr 0
		.amdhsa_user_sgpr_kernarg_segment_ptr 1
		.amdhsa_user_sgpr_dispatch_id 0
		.amdhsa_user_sgpr_flat_scratch_init 0
		.amdhsa_user_sgpr_private_segment_size 0
		.amdhsa_uses_dynamic_stack 0
		.amdhsa_system_sgpr_private_segment_wavefront_offset 0
		.amdhsa_system_sgpr_workgroup_id_x 1
		.amdhsa_system_sgpr_workgroup_id_y 1
		.amdhsa_system_sgpr_workgroup_id_z 0
		.amdhsa_system_sgpr_workgroup_info 0
		.amdhsa_system_vgpr_workitem_id 0
		.amdhsa_next_free_vgpr 6
		.amdhsa_next_free_sgpr 16
		.amdhsa_reserve_vcc 1
		.amdhsa_reserve_flat_scratch 0
		.amdhsa_float_round_mode_32 0
		.amdhsa_float_round_mode_16_64 0
		.amdhsa_float_denorm_mode_32 3
		.amdhsa_float_denorm_mode_16_64 3
		.amdhsa_dx10_clamp 1
		.amdhsa_ieee_mode 1
		.amdhsa_fp16_overflow 0
		.amdhsa_exception_fp_ieee_invalid_op 0
		.amdhsa_exception_fp_denorm_src 0
		.amdhsa_exception_fp_ieee_div_zero 0
		.amdhsa_exception_fp_ieee_overflow 0
		.amdhsa_exception_fp_ieee_underflow 0
		.amdhsa_exception_fp_ieee_inexact 0
		.amdhsa_exception_int_div_zero 0
	.end_amdhsa_kernel
	.section	.text._ZL36rocblas_check_numerics_vector_kernelILi256EPK19rocblas_complex_numIfEEviT0_lllP24rocblas_check_numerics_s,"axG",@progbits,_ZL36rocblas_check_numerics_vector_kernelILi256EPK19rocblas_complex_numIfEEviT0_lllP24rocblas_check_numerics_s,comdat
.Lfunc_end10:
	.size	_ZL36rocblas_check_numerics_vector_kernelILi256EPK19rocblas_complex_numIfEEviT0_lllP24rocblas_check_numerics_s, .Lfunc_end10-_ZL36rocblas_check_numerics_vector_kernelILi256EPK19rocblas_complex_numIfEEviT0_lllP24rocblas_check_numerics_s
                                        ; -- End function
	.set _ZL36rocblas_check_numerics_vector_kernelILi256EPK19rocblas_complex_numIfEEviT0_lllP24rocblas_check_numerics_s.num_vgpr, 6
	.set _ZL36rocblas_check_numerics_vector_kernelILi256EPK19rocblas_complex_numIfEEviT0_lllP24rocblas_check_numerics_s.num_agpr, 0
	.set _ZL36rocblas_check_numerics_vector_kernelILi256EPK19rocblas_complex_numIfEEviT0_lllP24rocblas_check_numerics_s.numbered_sgpr, 16
	.set _ZL36rocblas_check_numerics_vector_kernelILi256EPK19rocblas_complex_numIfEEviT0_lllP24rocblas_check_numerics_s.num_named_barrier, 0
	.set _ZL36rocblas_check_numerics_vector_kernelILi256EPK19rocblas_complex_numIfEEviT0_lllP24rocblas_check_numerics_s.private_seg_size, 0
	.set _ZL36rocblas_check_numerics_vector_kernelILi256EPK19rocblas_complex_numIfEEviT0_lllP24rocblas_check_numerics_s.uses_vcc, 1
	.set _ZL36rocblas_check_numerics_vector_kernelILi256EPK19rocblas_complex_numIfEEviT0_lllP24rocblas_check_numerics_s.uses_flat_scratch, 0
	.set _ZL36rocblas_check_numerics_vector_kernelILi256EPK19rocblas_complex_numIfEEviT0_lllP24rocblas_check_numerics_s.has_dyn_sized_stack, 0
	.set _ZL36rocblas_check_numerics_vector_kernelILi256EPK19rocblas_complex_numIfEEviT0_lllP24rocblas_check_numerics_s.has_recursion, 0
	.set _ZL36rocblas_check_numerics_vector_kernelILi256EPK19rocblas_complex_numIfEEviT0_lllP24rocblas_check_numerics_s.has_indirect_call, 0
	.section	.AMDGPU.csdata,"",@progbits
; Kernel info:
; codeLenInByte = 492
; TotalNumSgprs: 20
; NumVgprs: 6
; ScratchSize: 0
; MemoryBound: 0
; FloatMode: 240
; IeeeMode: 1
; LDSByteSize: 0 bytes/workgroup (compile time only)
; SGPRBlocks: 2
; VGPRBlocks: 1
; NumSGPRsForWavesPerEU: 20
; NumVGPRsForWavesPerEU: 6
; Occupancy: 10
; WaveLimiterHint : 0
; COMPUTE_PGM_RSRC2:SCRATCH_EN: 0
; COMPUTE_PGM_RSRC2:USER_SGPR: 6
; COMPUTE_PGM_RSRC2:TRAP_HANDLER: 0
; COMPUTE_PGM_RSRC2:TGID_X_EN: 1
; COMPUTE_PGM_RSRC2:TGID_Y_EN: 1
; COMPUTE_PGM_RSRC2:TGID_Z_EN: 0
; COMPUTE_PGM_RSRC2:TIDIG_COMP_CNT: 0
	.section	.text._ZL36rocblas_check_numerics_vector_kernelILi256EPKPK19rocblas_complex_numIfEEviT0_lllP24rocblas_check_numerics_s,"axG",@progbits,_ZL36rocblas_check_numerics_vector_kernelILi256EPKPK19rocblas_complex_numIfEEviT0_lllP24rocblas_check_numerics_s,comdat
	.globl	_ZL36rocblas_check_numerics_vector_kernelILi256EPKPK19rocblas_complex_numIfEEviT0_lllP24rocblas_check_numerics_s ; -- Begin function _ZL36rocblas_check_numerics_vector_kernelILi256EPKPK19rocblas_complex_numIfEEviT0_lllP24rocblas_check_numerics_s
	.p2align	8
	.type	_ZL36rocblas_check_numerics_vector_kernelILi256EPKPK19rocblas_complex_numIfEEviT0_lllP24rocblas_check_numerics_s,@function
_ZL36rocblas_check_numerics_vector_kernelILi256EPKPK19rocblas_complex_numIfEEviT0_lllP24rocblas_check_numerics_s: ; @_ZL36rocblas_check_numerics_vector_kernelILi256EPKPK19rocblas_complex_numIfEEviT0_lllP24rocblas_check_numerics_s
; %bb.0:
	s_load_dword s2, s[4:5], 0x0
	s_load_dword s1, s[4:5], 0x3c
	v_mov_b32_e32 v1, 0
	s_waitcnt lgkmcnt(0)
	s_ashr_i32 s3, s2, 31
	s_and_b32 s1, s1, 0xffff
	s_mul_i32 s6, s6, s1
	v_add_u32_e32 v0, s6, v0
	v_cmp_gt_i64_e32 vcc, s[2:3], v[0:1]
	s_and_saveexec_b64 s[2:3], vcc
	s_cbranch_execz .LBB11_16
; %bb.1:
	s_mov_b32 s0, s7
	s_load_dwordx4 s[8:11], s[4:5], 0x8
	s_load_dwordx2 s[6:7], s[4:5], 0x18
	s_load_dwordx2 s[2:3], s[4:5], 0x28
	s_mov_b32 s1, 0
	s_lshl_b64 s[0:1], s[0:1], 3
	s_waitcnt lgkmcnt(0)
	s_add_u32 s0, s8, s0
	v_mad_u64_u32 v[2:3], s[4:5], s6, v0, 0
	s_addc_u32 s1, s9, s1
	s_load_dwordx2 s[0:1], s[0:1], 0x0
	v_mad_u64_u32 v[3:4], s[4:5], s7, v0, v[3:4]
	s_lshl_b64 s[4:5], s[10:11], 3
	global_load_ubyte v5, v1, s[2:3] offset:1
	s_waitcnt lgkmcnt(0)
	s_add_u32 s0, s0, s4
	v_lshlrev_b64 v[2:3], 3, v[2:3]
	s_addc_u32 s1, s1, s5
	v_mov_b32_e32 v4, s1
	v_add_co_u32_e32 v0, vcc, s0, v2
	v_addc_co_u32_e32 v1, vcc, v4, v3, vcc
	flat_load_dwordx2 v[0:1], v[0:1]
	s_waitcnt vmcnt(0)
	v_and_b32_e32 v2, 1, v5
	v_cmp_eq_u32_e32 vcc, 1, v2
	s_cbranch_vccnz .LBB11_5
; %bb.2:
	s_waitcnt lgkmcnt(0)
	v_or_b32_e32 v2, v0, v1
	v_and_b32_e32 v2, 0x7fffffff, v2
	v_cmp_eq_u32_e32 vcc, 0, v2
	s_and_saveexec_b64 s[0:1], vcc
	s_cbranch_execz .LBB11_4
; %bb.3:
	v_mov_b32_e32 v2, 0
	v_mov_b32_e32 v3, 1
	global_store_byte v2, v3, s[2:3] offset:1
.LBB11_4:
	s_or_b64 exec, exec, s[0:1]
.LBB11_5:
	v_mov_b32_e32 v2, 0
	global_load_ubyte v3, v2, s[2:3]
	s_waitcnt vmcnt(0)
	v_and_b32_e32 v3, 1, v3
	v_cmp_eq_u32_e32 vcc, 1, v3
	s_cbranch_vccnz .LBB11_9
; %bb.6:
	s_waitcnt lgkmcnt(0)
	v_cmp_u_f32_e32 vcc, v0, v1
	s_and_saveexec_b64 s[0:1], vcc
	s_cbranch_execz .LBB11_8
; %bb.7:
	v_mov_b32_e32 v3, 0
	v_mov_b32_e32 v4, 1
	global_store_byte v3, v4, s[2:3]
.LBB11_8:
	s_or_b64 exec, exec, s[0:1]
.LBB11_9:
	global_load_ubyte v2, v2, s[2:3] offset:2
	s_waitcnt vmcnt(0)
	v_and_b32_e32 v2, 1, v2
	v_cmp_eq_u32_e32 vcc, 1, v2
	s_cbranch_vccnz .LBB11_13
; %bb.10:
	s_movk_i32 s4, 0x204
	s_waitcnt lgkmcnt(0)
	v_cmp_class_f32_e64 s[0:1], v0, s4
	v_cmp_class_f32_e64 s[4:5], v1, s4
	s_or_b64 s[4:5], s[0:1], s[4:5]
	s_and_saveexec_b64 s[0:1], s[4:5]
	s_cbranch_execz .LBB11_12
; %bb.11:
	v_mov_b32_e32 v2, 0
	v_mov_b32_e32 v3, 1
	global_store_byte v2, v3, s[2:3] offset:2
.LBB11_12:
	s_or_b64 exec, exec, s[0:1]
.LBB11_13:
	v_mov_b32_e32 v2, 0
	global_load_ubyte v2, v2, s[2:3] offset:3
	s_waitcnt vmcnt(0)
	v_and_b32_e32 v2, 1, v2
	v_cmp_eq_u32_e32 vcc, 1, v2
	s_cbranch_vccnz .LBB11_16
; %bb.14:
	s_waitcnt lgkmcnt(0)
	v_cmp_gt_f32_e32 vcc, 0, v0
	v_cndmask_b32_e64 v0, v0, -v0, vcc
	s_mov_b32 s6, 0x800000
	v_cmp_le_f32_e32 vcc, 1, v0
	v_cmp_gt_f32_e64 s[0:1], s6, v0
	s_and_b64 s[4:5], vcc, s[0:1]
	v_cmp_gt_f32_e32 vcc, 0, v1
	v_cndmask_b32_e64 v0, v1, -v1, vcc
	v_cmp_le_f32_e32 vcc, 1, v0
	v_cmp_gt_f32_e64 s[0:1], s6, v0
	s_and_b64 s[0:1], vcc, s[0:1]
	s_or_b64 s[0:1], s[4:5], s[0:1]
	s_and_b64 exec, exec, s[0:1]
	s_cbranch_execz .LBB11_16
; %bb.15:
	v_mov_b32_e32 v0, 0
	v_mov_b32_e32 v1, 1
	global_store_byte v0, v1, s[2:3] offset:3
.LBB11_16:
	s_endpgm
	.section	.rodata,"a",@progbits
	.p2align	6, 0x0
	.amdhsa_kernel _ZL36rocblas_check_numerics_vector_kernelILi256EPKPK19rocblas_complex_numIfEEviT0_lllP24rocblas_check_numerics_s
		.amdhsa_group_segment_fixed_size 0
		.amdhsa_private_segment_fixed_size 0
		.amdhsa_kernarg_size 304
		.amdhsa_user_sgpr_count 6
		.amdhsa_user_sgpr_private_segment_buffer 1
		.amdhsa_user_sgpr_dispatch_ptr 0
		.amdhsa_user_sgpr_queue_ptr 0
		.amdhsa_user_sgpr_kernarg_segment_ptr 1
		.amdhsa_user_sgpr_dispatch_id 0
		.amdhsa_user_sgpr_flat_scratch_init 0
		.amdhsa_user_sgpr_private_segment_size 0
		.amdhsa_uses_dynamic_stack 0
		.amdhsa_system_sgpr_private_segment_wavefront_offset 0
		.amdhsa_system_sgpr_workgroup_id_x 1
		.amdhsa_system_sgpr_workgroup_id_y 1
		.amdhsa_system_sgpr_workgroup_id_z 0
		.amdhsa_system_sgpr_workgroup_info 0
		.amdhsa_system_vgpr_workitem_id 0
		.amdhsa_next_free_vgpr 6
		.amdhsa_next_free_sgpr 12
		.amdhsa_reserve_vcc 1
		.amdhsa_reserve_flat_scratch 0
		.amdhsa_float_round_mode_32 0
		.amdhsa_float_round_mode_16_64 0
		.amdhsa_float_denorm_mode_32 3
		.amdhsa_float_denorm_mode_16_64 3
		.amdhsa_dx10_clamp 1
		.amdhsa_ieee_mode 1
		.amdhsa_fp16_overflow 0
		.amdhsa_exception_fp_ieee_invalid_op 0
		.amdhsa_exception_fp_denorm_src 0
		.amdhsa_exception_fp_ieee_div_zero 0
		.amdhsa_exception_fp_ieee_overflow 0
		.amdhsa_exception_fp_ieee_underflow 0
		.amdhsa_exception_fp_ieee_inexact 0
		.amdhsa_exception_int_div_zero 0
	.end_amdhsa_kernel
	.section	.text._ZL36rocblas_check_numerics_vector_kernelILi256EPKPK19rocblas_complex_numIfEEviT0_lllP24rocblas_check_numerics_s,"axG",@progbits,_ZL36rocblas_check_numerics_vector_kernelILi256EPKPK19rocblas_complex_numIfEEviT0_lllP24rocblas_check_numerics_s,comdat
.Lfunc_end11:
	.size	_ZL36rocblas_check_numerics_vector_kernelILi256EPKPK19rocblas_complex_numIfEEviT0_lllP24rocblas_check_numerics_s, .Lfunc_end11-_ZL36rocblas_check_numerics_vector_kernelILi256EPKPK19rocblas_complex_numIfEEviT0_lllP24rocblas_check_numerics_s
                                        ; -- End function
	.set _ZL36rocblas_check_numerics_vector_kernelILi256EPKPK19rocblas_complex_numIfEEviT0_lllP24rocblas_check_numerics_s.num_vgpr, 6
	.set _ZL36rocblas_check_numerics_vector_kernelILi256EPKPK19rocblas_complex_numIfEEviT0_lllP24rocblas_check_numerics_s.num_agpr, 0
	.set _ZL36rocblas_check_numerics_vector_kernelILi256EPKPK19rocblas_complex_numIfEEviT0_lllP24rocblas_check_numerics_s.numbered_sgpr, 12
	.set _ZL36rocblas_check_numerics_vector_kernelILi256EPKPK19rocblas_complex_numIfEEviT0_lllP24rocblas_check_numerics_s.num_named_barrier, 0
	.set _ZL36rocblas_check_numerics_vector_kernelILi256EPKPK19rocblas_complex_numIfEEviT0_lllP24rocblas_check_numerics_s.private_seg_size, 0
	.set _ZL36rocblas_check_numerics_vector_kernelILi256EPKPK19rocblas_complex_numIfEEviT0_lllP24rocblas_check_numerics_s.uses_vcc, 1
	.set _ZL36rocblas_check_numerics_vector_kernelILi256EPKPK19rocblas_complex_numIfEEviT0_lllP24rocblas_check_numerics_s.uses_flat_scratch, 0
	.set _ZL36rocblas_check_numerics_vector_kernelILi256EPKPK19rocblas_complex_numIfEEviT0_lllP24rocblas_check_numerics_s.has_dyn_sized_stack, 0
	.set _ZL36rocblas_check_numerics_vector_kernelILi256EPKPK19rocblas_complex_numIfEEviT0_lllP24rocblas_check_numerics_s.has_recursion, 0
	.set _ZL36rocblas_check_numerics_vector_kernelILi256EPKPK19rocblas_complex_numIfEEviT0_lllP24rocblas_check_numerics_s.has_indirect_call, 0
	.section	.AMDGPU.csdata,"",@progbits
; Kernel info:
; codeLenInByte = 516
; TotalNumSgprs: 16
; NumVgprs: 6
; ScratchSize: 0
; MemoryBound: 0
; FloatMode: 240
; IeeeMode: 1
; LDSByteSize: 0 bytes/workgroup (compile time only)
; SGPRBlocks: 1
; VGPRBlocks: 1
; NumSGPRsForWavesPerEU: 16
; NumVGPRsForWavesPerEU: 6
; Occupancy: 10
; WaveLimiterHint : 1
; COMPUTE_PGM_RSRC2:SCRATCH_EN: 0
; COMPUTE_PGM_RSRC2:USER_SGPR: 6
; COMPUTE_PGM_RSRC2:TRAP_HANDLER: 0
; COMPUTE_PGM_RSRC2:TGID_X_EN: 1
; COMPUTE_PGM_RSRC2:TGID_Y_EN: 1
; COMPUTE_PGM_RSRC2:TGID_Z_EN: 0
; COMPUTE_PGM_RSRC2:TIDIG_COMP_CNT: 0
	.section	.text._ZL36rocblas_check_numerics_vector_kernelILi256EP19rocblas_complex_numIdEEviT0_lllP24rocblas_check_numerics_s,"axG",@progbits,_ZL36rocblas_check_numerics_vector_kernelILi256EP19rocblas_complex_numIdEEviT0_lllP24rocblas_check_numerics_s,comdat
	.globl	_ZL36rocblas_check_numerics_vector_kernelILi256EP19rocblas_complex_numIdEEviT0_lllP24rocblas_check_numerics_s ; -- Begin function _ZL36rocblas_check_numerics_vector_kernelILi256EP19rocblas_complex_numIdEEviT0_lllP24rocblas_check_numerics_s
	.p2align	8
	.type	_ZL36rocblas_check_numerics_vector_kernelILi256EP19rocblas_complex_numIdEEviT0_lllP24rocblas_check_numerics_s,@function
_ZL36rocblas_check_numerics_vector_kernelILi256EP19rocblas_complex_numIdEEviT0_lllP24rocblas_check_numerics_s: ; @_ZL36rocblas_check_numerics_vector_kernelILi256EP19rocblas_complex_numIdEEviT0_lllP24rocblas_check_numerics_s
; %bb.0:
	s_load_dword s0, s[4:5], 0x0
	s_load_dword s2, s[4:5], 0x3c
	v_mov_b32_e32 v1, 0
	s_waitcnt lgkmcnt(0)
	s_ashr_i32 s1, s0, 31
	s_and_b32 s2, s2, 0xffff
	s_mul_i32 s6, s6, s2
	v_add_u32_e32 v0, s6, v0
	v_cmp_gt_i64_e32 vcc, s[0:1], v[0:1]
	s_and_saveexec_b64 s[0:1], vcc
	s_cbranch_execz .LBB12_16
; %bb.1:
	s_load_dwordx8 s[12:19], s[4:5], 0x8
	s_load_dwordx2 s[8:9], s[4:5], 0x28
	s_waitcnt lgkmcnt(0)
	s_mul_i32 s1, s19, s7
	s_mul_hi_u32 s2, s18, s7
	s_add_i32 s1, s2, s1
	v_mad_u64_u32 v[2:3], s[2:3], s16, v0, 0
	s_mul_i32 s0, s18, s7
	s_lshl_b64 s[0:1], s[0:1], 4
	s_add_u32 s2, s12, s0
	s_addc_u32 s3, s13, s1
	v_mad_u64_u32 v[3:4], s[0:1], s17, v0, v[3:4]
	s_lshl_b64 s[0:1], s[14:15], 4
	s_add_u32 s0, s2, s0
	v_lshlrev_b64 v[2:3], 4, v[2:3]
	s_addc_u32 s1, s3, s1
	global_load_ubyte v5, v1, s[8:9] offset:1
	v_mov_b32_e32 v4, s1
	v_add_co_u32_e32 v0, vcc, s0, v2
	v_addc_co_u32_e32 v1, vcc, v4, v3, vcc
	global_load_dwordx4 v[0:3], v[0:1], off
	s_waitcnt vmcnt(1)
	v_and_b32_e32 v4, 1, v5
	v_cmp_eq_u32_e32 vcc, 1, v4
	s_cbranch_vccnz .LBB12_5
; %bb.2:
	s_waitcnt vmcnt(0)
	v_cmp_eq_f64_e32 vcc, 0, v[0:1]
	v_cmp_eq_f64_e64 s[0:1], 0, v[2:3]
	s_and_b64 s[2:3], vcc, s[0:1]
	s_and_saveexec_b64 s[0:1], s[2:3]
	s_cbranch_execz .LBB12_4
; %bb.3:
	v_mov_b32_e32 v4, 0
	v_mov_b32_e32 v5, 1
	global_store_byte v4, v5, s[8:9] offset:1
.LBB12_4:
	s_or_b64 exec, exec, s[0:1]
.LBB12_5:
	v_mov_b32_e32 v4, 0
	global_load_ubyte v5, v4, s[8:9]
	s_waitcnt vmcnt(0)
	v_and_b32_e32 v5, 1, v5
	v_cmp_eq_u32_e32 vcc, 1, v5
	s_cbranch_vccnz .LBB12_9
; %bb.6:
	v_cmp_u_f64_e32 vcc, v[0:1], v[2:3]
	s_and_saveexec_b64 s[0:1], vcc
	s_cbranch_execz .LBB12_8
; %bb.7:
	v_mov_b32_e32 v5, 0
	v_mov_b32_e32 v6, 1
	global_store_byte v5, v6, s[8:9]
.LBB12_8:
	s_or_b64 exec, exec, s[0:1]
.LBB12_9:
	global_load_ubyte v4, v4, s[8:9] offset:2
	s_waitcnt vmcnt(0)
	v_and_b32_e32 v4, 1, v4
	v_cmp_eq_u32_e32 vcc, 1, v4
	s_cbranch_vccnz .LBB12_13
; %bb.10:
	s_movk_i32 s2, 0x204
	v_cmp_class_f64_e64 s[0:1], v[0:1], s2
	v_cmp_class_f64_e64 s[2:3], v[2:3], s2
	s_or_b64 s[2:3], s[0:1], s[2:3]
	s_and_saveexec_b64 s[0:1], s[2:3]
	s_cbranch_execz .LBB12_12
; %bb.11:
	v_mov_b32_e32 v4, 0
	v_mov_b32_e32 v5, 1
	global_store_byte v4, v5, s[8:9] offset:2
.LBB12_12:
	s_or_b64 exec, exec, s[0:1]
.LBB12_13:
	v_mov_b32_e32 v4, 0
	global_load_ubyte v4, v4, s[8:9] offset:3
	s_waitcnt vmcnt(0)
	v_and_b32_e32 v4, 1, v4
	v_cmp_eq_u32_e32 vcc, 1, v4
	s_cbranch_vccnz .LBB12_16
; %bb.14:
	v_cmp_gt_f64_e32 vcc, 0, v[0:1]
	v_cmp_gt_f64_e64 s[2:3], 0, v[2:3]
	v_xor_b32_e32 v4, 0x80000000, v1
	s_mov_b32 s4, 0
	s_mov_b32 s5, 0x100000
	v_cndmask_b32_e32 v1, v1, v4, vcc
	v_cmp_le_f64_e32 vcc, 1, v[0:1]
	v_cmp_gt_f64_e64 s[0:1], s[4:5], v[0:1]
	v_xor_b32_e32 v0, 0x80000000, v3
	v_cndmask_b32_e64 v3, v3, v0, s[2:3]
	v_cmp_le_f64_e64 s[2:3], 1, v[2:3]
	v_cmp_gt_f64_e64 s[4:5], s[4:5], v[2:3]
	s_and_b64 s[0:1], vcc, s[0:1]
	s_and_b64 s[2:3], s[2:3], s[4:5]
	s_or_b64 s[0:1], s[0:1], s[2:3]
	s_and_b64 exec, exec, s[0:1]
	s_cbranch_execz .LBB12_16
; %bb.15:
	v_mov_b32_e32 v0, 0
	v_mov_b32_e32 v1, 1
	global_store_byte v0, v1, s[8:9] offset:3
.LBB12_16:
	s_endpgm
	.section	.rodata,"a",@progbits
	.p2align	6, 0x0
	.amdhsa_kernel _ZL36rocblas_check_numerics_vector_kernelILi256EP19rocblas_complex_numIdEEviT0_lllP24rocblas_check_numerics_s
		.amdhsa_group_segment_fixed_size 0
		.amdhsa_private_segment_fixed_size 0
		.amdhsa_kernarg_size 304
		.amdhsa_user_sgpr_count 6
		.amdhsa_user_sgpr_private_segment_buffer 1
		.amdhsa_user_sgpr_dispatch_ptr 0
		.amdhsa_user_sgpr_queue_ptr 0
		.amdhsa_user_sgpr_kernarg_segment_ptr 1
		.amdhsa_user_sgpr_dispatch_id 0
		.amdhsa_user_sgpr_flat_scratch_init 0
		.amdhsa_user_sgpr_private_segment_size 0
		.amdhsa_uses_dynamic_stack 0
		.amdhsa_system_sgpr_private_segment_wavefront_offset 0
		.amdhsa_system_sgpr_workgroup_id_x 1
		.amdhsa_system_sgpr_workgroup_id_y 1
		.amdhsa_system_sgpr_workgroup_id_z 0
		.amdhsa_system_sgpr_workgroup_info 0
		.amdhsa_system_vgpr_workitem_id 0
		.amdhsa_next_free_vgpr 7
		.amdhsa_next_free_sgpr 20
		.amdhsa_reserve_vcc 1
		.amdhsa_reserve_flat_scratch 0
		.amdhsa_float_round_mode_32 0
		.amdhsa_float_round_mode_16_64 0
		.amdhsa_float_denorm_mode_32 3
		.amdhsa_float_denorm_mode_16_64 3
		.amdhsa_dx10_clamp 1
		.amdhsa_ieee_mode 1
		.amdhsa_fp16_overflow 0
		.amdhsa_exception_fp_ieee_invalid_op 0
		.amdhsa_exception_fp_denorm_src 0
		.amdhsa_exception_fp_ieee_div_zero 0
		.amdhsa_exception_fp_ieee_overflow 0
		.amdhsa_exception_fp_ieee_underflow 0
		.amdhsa_exception_fp_ieee_inexact 0
		.amdhsa_exception_int_div_zero 0
	.end_amdhsa_kernel
	.section	.text._ZL36rocblas_check_numerics_vector_kernelILi256EP19rocblas_complex_numIdEEviT0_lllP24rocblas_check_numerics_s,"axG",@progbits,_ZL36rocblas_check_numerics_vector_kernelILi256EP19rocblas_complex_numIdEEviT0_lllP24rocblas_check_numerics_s,comdat
.Lfunc_end12:
	.size	_ZL36rocblas_check_numerics_vector_kernelILi256EP19rocblas_complex_numIdEEviT0_lllP24rocblas_check_numerics_s, .Lfunc_end12-_ZL36rocblas_check_numerics_vector_kernelILi256EP19rocblas_complex_numIdEEviT0_lllP24rocblas_check_numerics_s
                                        ; -- End function
	.set _ZL36rocblas_check_numerics_vector_kernelILi256EP19rocblas_complex_numIdEEviT0_lllP24rocblas_check_numerics_s.num_vgpr, 7
	.set _ZL36rocblas_check_numerics_vector_kernelILi256EP19rocblas_complex_numIdEEviT0_lllP24rocblas_check_numerics_s.num_agpr, 0
	.set _ZL36rocblas_check_numerics_vector_kernelILi256EP19rocblas_complex_numIdEEviT0_lllP24rocblas_check_numerics_s.numbered_sgpr, 20
	.set _ZL36rocblas_check_numerics_vector_kernelILi256EP19rocblas_complex_numIdEEviT0_lllP24rocblas_check_numerics_s.num_named_barrier, 0
	.set _ZL36rocblas_check_numerics_vector_kernelILi256EP19rocblas_complex_numIdEEviT0_lllP24rocblas_check_numerics_s.private_seg_size, 0
	.set _ZL36rocblas_check_numerics_vector_kernelILi256EP19rocblas_complex_numIdEEviT0_lllP24rocblas_check_numerics_s.uses_vcc, 1
	.set _ZL36rocblas_check_numerics_vector_kernelILi256EP19rocblas_complex_numIdEEviT0_lllP24rocblas_check_numerics_s.uses_flat_scratch, 0
	.set _ZL36rocblas_check_numerics_vector_kernelILi256EP19rocblas_complex_numIdEEviT0_lllP24rocblas_check_numerics_s.has_dyn_sized_stack, 0
	.set _ZL36rocblas_check_numerics_vector_kernelILi256EP19rocblas_complex_numIdEEviT0_lllP24rocblas_check_numerics_s.has_recursion, 0
	.set _ZL36rocblas_check_numerics_vector_kernelILi256EP19rocblas_complex_numIdEEviT0_lllP24rocblas_check_numerics_s.has_indirect_call, 0
	.section	.AMDGPU.csdata,"",@progbits
; Kernel info:
; codeLenInByte = 516
; TotalNumSgprs: 24
; NumVgprs: 7
; ScratchSize: 0
; MemoryBound: 0
; FloatMode: 240
; IeeeMode: 1
; LDSByteSize: 0 bytes/workgroup (compile time only)
; SGPRBlocks: 2
; VGPRBlocks: 1
; NumSGPRsForWavesPerEU: 24
; NumVGPRsForWavesPerEU: 7
; Occupancy: 10
; WaveLimiterHint : 0
; COMPUTE_PGM_RSRC2:SCRATCH_EN: 0
; COMPUTE_PGM_RSRC2:USER_SGPR: 6
; COMPUTE_PGM_RSRC2:TRAP_HANDLER: 0
; COMPUTE_PGM_RSRC2:TGID_X_EN: 1
; COMPUTE_PGM_RSRC2:TGID_Y_EN: 1
; COMPUTE_PGM_RSRC2:TGID_Z_EN: 0
; COMPUTE_PGM_RSRC2:TIDIG_COMP_CNT: 0
	.section	.text._ZL36rocblas_check_numerics_vector_kernelILi256EPKP19rocblas_complex_numIdEEviT0_lllP24rocblas_check_numerics_s,"axG",@progbits,_ZL36rocblas_check_numerics_vector_kernelILi256EPKP19rocblas_complex_numIdEEviT0_lllP24rocblas_check_numerics_s,comdat
	.globl	_ZL36rocblas_check_numerics_vector_kernelILi256EPKP19rocblas_complex_numIdEEviT0_lllP24rocblas_check_numerics_s ; -- Begin function _ZL36rocblas_check_numerics_vector_kernelILi256EPKP19rocblas_complex_numIdEEviT0_lllP24rocblas_check_numerics_s
	.p2align	8
	.type	_ZL36rocblas_check_numerics_vector_kernelILi256EPKP19rocblas_complex_numIdEEviT0_lllP24rocblas_check_numerics_s,@function
_ZL36rocblas_check_numerics_vector_kernelILi256EPKP19rocblas_complex_numIdEEviT0_lllP24rocblas_check_numerics_s: ; @_ZL36rocblas_check_numerics_vector_kernelILi256EPKP19rocblas_complex_numIdEEviT0_lllP24rocblas_check_numerics_s
; %bb.0:
	s_load_dword s2, s[4:5], 0x0
	s_load_dword s1, s[4:5], 0x3c
	v_mov_b32_e32 v1, 0
	s_waitcnt lgkmcnt(0)
	s_ashr_i32 s3, s2, 31
	s_and_b32 s1, s1, 0xffff
	s_mul_i32 s6, s6, s1
	v_add_u32_e32 v0, s6, v0
	v_cmp_gt_i64_e32 vcc, s[2:3], v[0:1]
	s_and_saveexec_b64 s[2:3], vcc
	s_cbranch_execz .LBB13_16
; %bb.1:
	s_mov_b32 s0, s7
	s_load_dwordx4 s[8:11], s[4:5], 0x8
	s_load_dwordx2 s[2:3], s[4:5], 0x18
	s_load_dwordx2 s[6:7], s[4:5], 0x28
	s_mov_b32 s1, 0
	s_lshl_b64 s[0:1], s[0:1], 3
	s_waitcnt lgkmcnt(0)
	s_add_u32 s0, s8, s0
	v_mad_u64_u32 v[2:3], s[4:5], s2, v0, 0
	s_addc_u32 s1, s9, s1
	s_load_dwordx2 s[0:1], s[0:1], 0x0
	v_mad_u64_u32 v[3:4], s[2:3], s3, v0, v[3:4]
	s_lshl_b64 s[2:3], s[10:11], 4
	global_load_ubyte v5, v1, s[6:7] offset:1
	s_waitcnt lgkmcnt(0)
	s_add_u32 s0, s0, s2
	v_lshlrev_b64 v[2:3], 4, v[2:3]
	s_addc_u32 s1, s1, s3
	v_mov_b32_e32 v4, s1
	v_add_co_u32_e32 v0, vcc, s0, v2
	v_addc_co_u32_e32 v1, vcc, v4, v3, vcc
	flat_load_dwordx4 v[0:3], v[0:1]
	s_waitcnt vmcnt(0)
	v_and_b32_e32 v4, 1, v5
	v_cmp_eq_u32_e32 vcc, 1, v4
	s_cbranch_vccnz .LBB13_5
; %bb.2:
	s_waitcnt lgkmcnt(0)
	v_cmp_eq_f64_e32 vcc, 0, v[0:1]
	v_cmp_eq_f64_e64 s[0:1], 0, v[2:3]
	s_and_b64 s[2:3], vcc, s[0:1]
	s_and_saveexec_b64 s[0:1], s[2:3]
	s_cbranch_execz .LBB13_4
; %bb.3:
	v_mov_b32_e32 v4, 0
	v_mov_b32_e32 v5, 1
	global_store_byte v4, v5, s[6:7] offset:1
.LBB13_4:
	s_or_b64 exec, exec, s[0:1]
.LBB13_5:
	v_mov_b32_e32 v4, 0
	global_load_ubyte v5, v4, s[6:7]
	s_waitcnt vmcnt(0)
	v_and_b32_e32 v5, 1, v5
	v_cmp_eq_u32_e32 vcc, 1, v5
	s_cbranch_vccnz .LBB13_9
; %bb.6:
	s_waitcnt lgkmcnt(0)
	v_cmp_u_f64_e32 vcc, v[0:1], v[2:3]
	s_and_saveexec_b64 s[0:1], vcc
	s_cbranch_execz .LBB13_8
; %bb.7:
	v_mov_b32_e32 v5, 0
	v_mov_b32_e32 v6, 1
	global_store_byte v5, v6, s[6:7]
.LBB13_8:
	s_or_b64 exec, exec, s[0:1]
.LBB13_9:
	global_load_ubyte v4, v4, s[6:7] offset:2
	s_waitcnt vmcnt(0)
	v_and_b32_e32 v4, 1, v4
	v_cmp_eq_u32_e32 vcc, 1, v4
	s_cbranch_vccnz .LBB13_13
; %bb.10:
	s_movk_i32 s2, 0x204
	s_waitcnt lgkmcnt(0)
	v_cmp_class_f64_e64 s[0:1], v[0:1], s2
	v_cmp_class_f64_e64 s[2:3], v[2:3], s2
	s_or_b64 s[2:3], s[0:1], s[2:3]
	s_and_saveexec_b64 s[0:1], s[2:3]
	s_cbranch_execz .LBB13_12
; %bb.11:
	v_mov_b32_e32 v4, 0
	v_mov_b32_e32 v5, 1
	global_store_byte v4, v5, s[6:7] offset:2
.LBB13_12:
	s_or_b64 exec, exec, s[0:1]
.LBB13_13:
	v_mov_b32_e32 v4, 0
	global_load_ubyte v4, v4, s[6:7] offset:3
	s_waitcnt vmcnt(0)
	v_and_b32_e32 v4, 1, v4
	v_cmp_eq_u32_e32 vcc, 1, v4
	s_cbranch_vccnz .LBB13_16
; %bb.14:
	s_waitcnt lgkmcnt(0)
	v_cmp_gt_f64_e32 vcc, 0, v[0:1]
	v_cmp_gt_f64_e64 s[2:3], 0, v[2:3]
	v_xor_b32_e32 v4, 0x80000000, v1
	s_mov_b32 s4, 0
	s_mov_b32 s5, 0x100000
	v_cndmask_b32_e32 v1, v1, v4, vcc
	v_cmp_le_f64_e32 vcc, 1, v[0:1]
	v_cmp_gt_f64_e64 s[0:1], s[4:5], v[0:1]
	v_xor_b32_e32 v0, 0x80000000, v3
	v_cndmask_b32_e64 v3, v3, v0, s[2:3]
	v_cmp_le_f64_e64 s[2:3], 1, v[2:3]
	v_cmp_gt_f64_e64 s[4:5], s[4:5], v[2:3]
	s_and_b64 s[0:1], vcc, s[0:1]
	s_and_b64 s[2:3], s[2:3], s[4:5]
	s_or_b64 s[0:1], s[0:1], s[2:3]
	s_and_b64 exec, exec, s[0:1]
	s_cbranch_execz .LBB13_16
; %bb.15:
	v_mov_b32_e32 v0, 0
	v_mov_b32_e32 v1, 1
	global_store_byte v0, v1, s[6:7] offset:3
.LBB13_16:
	s_endpgm
	.section	.rodata,"a",@progbits
	.p2align	6, 0x0
	.amdhsa_kernel _ZL36rocblas_check_numerics_vector_kernelILi256EPKP19rocblas_complex_numIdEEviT0_lllP24rocblas_check_numerics_s
		.amdhsa_group_segment_fixed_size 0
		.amdhsa_private_segment_fixed_size 0
		.amdhsa_kernarg_size 304
		.amdhsa_user_sgpr_count 6
		.amdhsa_user_sgpr_private_segment_buffer 1
		.amdhsa_user_sgpr_dispatch_ptr 0
		.amdhsa_user_sgpr_queue_ptr 0
		.amdhsa_user_sgpr_kernarg_segment_ptr 1
		.amdhsa_user_sgpr_dispatch_id 0
		.amdhsa_user_sgpr_flat_scratch_init 0
		.amdhsa_user_sgpr_private_segment_size 0
		.amdhsa_uses_dynamic_stack 0
		.amdhsa_system_sgpr_private_segment_wavefront_offset 0
		.amdhsa_system_sgpr_workgroup_id_x 1
		.amdhsa_system_sgpr_workgroup_id_y 1
		.amdhsa_system_sgpr_workgroup_id_z 0
		.amdhsa_system_sgpr_workgroup_info 0
		.amdhsa_system_vgpr_workitem_id 0
		.amdhsa_next_free_vgpr 7
		.amdhsa_next_free_sgpr 12
		.amdhsa_reserve_vcc 1
		.amdhsa_reserve_flat_scratch 0
		.amdhsa_float_round_mode_32 0
		.amdhsa_float_round_mode_16_64 0
		.amdhsa_float_denorm_mode_32 3
		.amdhsa_float_denorm_mode_16_64 3
		.amdhsa_dx10_clamp 1
		.amdhsa_ieee_mode 1
		.amdhsa_fp16_overflow 0
		.amdhsa_exception_fp_ieee_invalid_op 0
		.amdhsa_exception_fp_denorm_src 0
		.amdhsa_exception_fp_ieee_div_zero 0
		.amdhsa_exception_fp_ieee_overflow 0
		.amdhsa_exception_fp_ieee_underflow 0
		.amdhsa_exception_fp_ieee_inexact 0
		.amdhsa_exception_int_div_zero 0
	.end_amdhsa_kernel
	.section	.text._ZL36rocblas_check_numerics_vector_kernelILi256EPKP19rocblas_complex_numIdEEviT0_lllP24rocblas_check_numerics_s,"axG",@progbits,_ZL36rocblas_check_numerics_vector_kernelILi256EPKP19rocblas_complex_numIdEEviT0_lllP24rocblas_check_numerics_s,comdat
.Lfunc_end13:
	.size	_ZL36rocblas_check_numerics_vector_kernelILi256EPKP19rocblas_complex_numIdEEviT0_lllP24rocblas_check_numerics_s, .Lfunc_end13-_ZL36rocblas_check_numerics_vector_kernelILi256EPKP19rocblas_complex_numIdEEviT0_lllP24rocblas_check_numerics_s
                                        ; -- End function
	.set _ZL36rocblas_check_numerics_vector_kernelILi256EPKP19rocblas_complex_numIdEEviT0_lllP24rocblas_check_numerics_s.num_vgpr, 7
	.set _ZL36rocblas_check_numerics_vector_kernelILi256EPKP19rocblas_complex_numIdEEviT0_lllP24rocblas_check_numerics_s.num_agpr, 0
	.set _ZL36rocblas_check_numerics_vector_kernelILi256EPKP19rocblas_complex_numIdEEviT0_lllP24rocblas_check_numerics_s.numbered_sgpr, 12
	.set _ZL36rocblas_check_numerics_vector_kernelILi256EPKP19rocblas_complex_numIdEEviT0_lllP24rocblas_check_numerics_s.num_named_barrier, 0
	.set _ZL36rocblas_check_numerics_vector_kernelILi256EPKP19rocblas_complex_numIdEEviT0_lllP24rocblas_check_numerics_s.private_seg_size, 0
	.set _ZL36rocblas_check_numerics_vector_kernelILi256EPKP19rocblas_complex_numIdEEviT0_lllP24rocblas_check_numerics_s.uses_vcc, 1
	.set _ZL36rocblas_check_numerics_vector_kernelILi256EPKP19rocblas_complex_numIdEEviT0_lllP24rocblas_check_numerics_s.uses_flat_scratch, 0
	.set _ZL36rocblas_check_numerics_vector_kernelILi256EPKP19rocblas_complex_numIdEEviT0_lllP24rocblas_check_numerics_s.has_dyn_sized_stack, 0
	.set _ZL36rocblas_check_numerics_vector_kernelILi256EPKP19rocblas_complex_numIdEEviT0_lllP24rocblas_check_numerics_s.has_recursion, 0
	.set _ZL36rocblas_check_numerics_vector_kernelILi256EPKP19rocblas_complex_numIdEEviT0_lllP24rocblas_check_numerics_s.has_indirect_call, 0
	.section	.AMDGPU.csdata,"",@progbits
; Kernel info:
; codeLenInByte = 540
; TotalNumSgprs: 16
; NumVgprs: 7
; ScratchSize: 0
; MemoryBound: 0
; FloatMode: 240
; IeeeMode: 1
; LDSByteSize: 0 bytes/workgroup (compile time only)
; SGPRBlocks: 1
; VGPRBlocks: 1
; NumSGPRsForWavesPerEU: 16
; NumVGPRsForWavesPerEU: 7
; Occupancy: 10
; WaveLimiterHint : 1
; COMPUTE_PGM_RSRC2:SCRATCH_EN: 0
; COMPUTE_PGM_RSRC2:USER_SGPR: 6
; COMPUTE_PGM_RSRC2:TRAP_HANDLER: 0
; COMPUTE_PGM_RSRC2:TGID_X_EN: 1
; COMPUTE_PGM_RSRC2:TGID_Y_EN: 1
; COMPUTE_PGM_RSRC2:TGID_Z_EN: 0
; COMPUTE_PGM_RSRC2:TIDIG_COMP_CNT: 0
	.section	.text._ZL36rocblas_check_numerics_vector_kernelILi256EPK19rocblas_complex_numIdEEviT0_lllP24rocblas_check_numerics_s,"axG",@progbits,_ZL36rocblas_check_numerics_vector_kernelILi256EPK19rocblas_complex_numIdEEviT0_lllP24rocblas_check_numerics_s,comdat
	.globl	_ZL36rocblas_check_numerics_vector_kernelILi256EPK19rocblas_complex_numIdEEviT0_lllP24rocblas_check_numerics_s ; -- Begin function _ZL36rocblas_check_numerics_vector_kernelILi256EPK19rocblas_complex_numIdEEviT0_lllP24rocblas_check_numerics_s
	.p2align	8
	.type	_ZL36rocblas_check_numerics_vector_kernelILi256EPK19rocblas_complex_numIdEEviT0_lllP24rocblas_check_numerics_s,@function
_ZL36rocblas_check_numerics_vector_kernelILi256EPK19rocblas_complex_numIdEEviT0_lllP24rocblas_check_numerics_s: ; @_ZL36rocblas_check_numerics_vector_kernelILi256EPK19rocblas_complex_numIdEEviT0_lllP24rocblas_check_numerics_s
; %bb.0:
	s_load_dword s0, s[4:5], 0x0
	s_load_dword s2, s[4:5], 0x3c
	v_mov_b32_e32 v1, 0
	s_waitcnt lgkmcnt(0)
	s_ashr_i32 s1, s0, 31
	s_and_b32 s2, s2, 0xffff
	s_mul_i32 s6, s6, s2
	v_add_u32_e32 v0, s6, v0
	v_cmp_gt_i64_e32 vcc, s[0:1], v[0:1]
	s_and_saveexec_b64 s[0:1], vcc
	s_cbranch_execz .LBB14_16
; %bb.1:
	s_load_dwordx8 s[12:19], s[4:5], 0x8
	s_load_dwordx2 s[8:9], s[4:5], 0x28
	s_waitcnt lgkmcnt(0)
	s_mul_i32 s1, s19, s7
	s_mul_hi_u32 s2, s18, s7
	s_add_i32 s1, s2, s1
	v_mad_u64_u32 v[2:3], s[2:3], s16, v0, 0
	s_mul_i32 s0, s18, s7
	s_lshl_b64 s[0:1], s[0:1], 4
	s_add_u32 s2, s12, s0
	s_addc_u32 s3, s13, s1
	v_mad_u64_u32 v[3:4], s[0:1], s17, v0, v[3:4]
	s_lshl_b64 s[0:1], s[14:15], 4
	s_add_u32 s0, s2, s0
	v_lshlrev_b64 v[2:3], 4, v[2:3]
	s_addc_u32 s1, s3, s1
	global_load_ubyte v5, v1, s[8:9] offset:1
	v_mov_b32_e32 v4, s1
	v_add_co_u32_e32 v0, vcc, s0, v2
	v_addc_co_u32_e32 v1, vcc, v4, v3, vcc
	global_load_dwordx4 v[0:3], v[0:1], off
	s_waitcnt vmcnt(1)
	v_and_b32_e32 v4, 1, v5
	v_cmp_eq_u32_e32 vcc, 1, v4
	s_cbranch_vccnz .LBB14_5
; %bb.2:
	s_waitcnt vmcnt(0)
	v_cmp_eq_f64_e32 vcc, 0, v[0:1]
	v_cmp_eq_f64_e64 s[0:1], 0, v[2:3]
	s_and_b64 s[2:3], vcc, s[0:1]
	s_and_saveexec_b64 s[0:1], s[2:3]
	s_cbranch_execz .LBB14_4
; %bb.3:
	v_mov_b32_e32 v4, 0
	v_mov_b32_e32 v5, 1
	global_store_byte v4, v5, s[8:9] offset:1
.LBB14_4:
	s_or_b64 exec, exec, s[0:1]
.LBB14_5:
	v_mov_b32_e32 v4, 0
	global_load_ubyte v5, v4, s[8:9]
	s_waitcnt vmcnt(0)
	v_and_b32_e32 v5, 1, v5
	v_cmp_eq_u32_e32 vcc, 1, v5
	s_cbranch_vccnz .LBB14_9
; %bb.6:
	v_cmp_u_f64_e32 vcc, v[0:1], v[2:3]
	s_and_saveexec_b64 s[0:1], vcc
	s_cbranch_execz .LBB14_8
; %bb.7:
	v_mov_b32_e32 v5, 0
	v_mov_b32_e32 v6, 1
	global_store_byte v5, v6, s[8:9]
.LBB14_8:
	s_or_b64 exec, exec, s[0:1]
.LBB14_9:
	global_load_ubyte v4, v4, s[8:9] offset:2
	s_waitcnt vmcnt(0)
	v_and_b32_e32 v4, 1, v4
	v_cmp_eq_u32_e32 vcc, 1, v4
	s_cbranch_vccnz .LBB14_13
; %bb.10:
	s_movk_i32 s2, 0x204
	v_cmp_class_f64_e64 s[0:1], v[0:1], s2
	v_cmp_class_f64_e64 s[2:3], v[2:3], s2
	s_or_b64 s[2:3], s[0:1], s[2:3]
	s_and_saveexec_b64 s[0:1], s[2:3]
	s_cbranch_execz .LBB14_12
; %bb.11:
	v_mov_b32_e32 v4, 0
	v_mov_b32_e32 v5, 1
	global_store_byte v4, v5, s[8:9] offset:2
.LBB14_12:
	s_or_b64 exec, exec, s[0:1]
.LBB14_13:
	v_mov_b32_e32 v4, 0
	global_load_ubyte v4, v4, s[8:9] offset:3
	s_waitcnt vmcnt(0)
	v_and_b32_e32 v4, 1, v4
	v_cmp_eq_u32_e32 vcc, 1, v4
	s_cbranch_vccnz .LBB14_16
; %bb.14:
	v_cmp_gt_f64_e32 vcc, 0, v[0:1]
	v_cmp_gt_f64_e64 s[2:3], 0, v[2:3]
	v_xor_b32_e32 v4, 0x80000000, v1
	s_mov_b32 s4, 0
	s_mov_b32 s5, 0x100000
	v_cndmask_b32_e32 v1, v1, v4, vcc
	v_cmp_le_f64_e32 vcc, 1, v[0:1]
	v_cmp_gt_f64_e64 s[0:1], s[4:5], v[0:1]
	v_xor_b32_e32 v0, 0x80000000, v3
	v_cndmask_b32_e64 v3, v3, v0, s[2:3]
	v_cmp_le_f64_e64 s[2:3], 1, v[2:3]
	v_cmp_gt_f64_e64 s[4:5], s[4:5], v[2:3]
	s_and_b64 s[0:1], vcc, s[0:1]
	s_and_b64 s[2:3], s[2:3], s[4:5]
	s_or_b64 s[0:1], s[0:1], s[2:3]
	s_and_b64 exec, exec, s[0:1]
	s_cbranch_execz .LBB14_16
; %bb.15:
	v_mov_b32_e32 v0, 0
	v_mov_b32_e32 v1, 1
	global_store_byte v0, v1, s[8:9] offset:3
.LBB14_16:
	s_endpgm
	.section	.rodata,"a",@progbits
	.p2align	6, 0x0
	.amdhsa_kernel _ZL36rocblas_check_numerics_vector_kernelILi256EPK19rocblas_complex_numIdEEviT0_lllP24rocblas_check_numerics_s
		.amdhsa_group_segment_fixed_size 0
		.amdhsa_private_segment_fixed_size 0
		.amdhsa_kernarg_size 304
		.amdhsa_user_sgpr_count 6
		.amdhsa_user_sgpr_private_segment_buffer 1
		.amdhsa_user_sgpr_dispatch_ptr 0
		.amdhsa_user_sgpr_queue_ptr 0
		.amdhsa_user_sgpr_kernarg_segment_ptr 1
		.amdhsa_user_sgpr_dispatch_id 0
		.amdhsa_user_sgpr_flat_scratch_init 0
		.amdhsa_user_sgpr_private_segment_size 0
		.amdhsa_uses_dynamic_stack 0
		.amdhsa_system_sgpr_private_segment_wavefront_offset 0
		.amdhsa_system_sgpr_workgroup_id_x 1
		.amdhsa_system_sgpr_workgroup_id_y 1
		.amdhsa_system_sgpr_workgroup_id_z 0
		.amdhsa_system_sgpr_workgroup_info 0
		.amdhsa_system_vgpr_workitem_id 0
		.amdhsa_next_free_vgpr 7
		.amdhsa_next_free_sgpr 20
		.amdhsa_reserve_vcc 1
		.amdhsa_reserve_flat_scratch 0
		.amdhsa_float_round_mode_32 0
		.amdhsa_float_round_mode_16_64 0
		.amdhsa_float_denorm_mode_32 3
		.amdhsa_float_denorm_mode_16_64 3
		.amdhsa_dx10_clamp 1
		.amdhsa_ieee_mode 1
		.amdhsa_fp16_overflow 0
		.amdhsa_exception_fp_ieee_invalid_op 0
		.amdhsa_exception_fp_denorm_src 0
		.amdhsa_exception_fp_ieee_div_zero 0
		.amdhsa_exception_fp_ieee_overflow 0
		.amdhsa_exception_fp_ieee_underflow 0
		.amdhsa_exception_fp_ieee_inexact 0
		.amdhsa_exception_int_div_zero 0
	.end_amdhsa_kernel
	.section	.text._ZL36rocblas_check_numerics_vector_kernelILi256EPK19rocblas_complex_numIdEEviT0_lllP24rocblas_check_numerics_s,"axG",@progbits,_ZL36rocblas_check_numerics_vector_kernelILi256EPK19rocblas_complex_numIdEEviT0_lllP24rocblas_check_numerics_s,comdat
.Lfunc_end14:
	.size	_ZL36rocblas_check_numerics_vector_kernelILi256EPK19rocblas_complex_numIdEEviT0_lllP24rocblas_check_numerics_s, .Lfunc_end14-_ZL36rocblas_check_numerics_vector_kernelILi256EPK19rocblas_complex_numIdEEviT0_lllP24rocblas_check_numerics_s
                                        ; -- End function
	.set _ZL36rocblas_check_numerics_vector_kernelILi256EPK19rocblas_complex_numIdEEviT0_lllP24rocblas_check_numerics_s.num_vgpr, 7
	.set _ZL36rocblas_check_numerics_vector_kernelILi256EPK19rocblas_complex_numIdEEviT0_lllP24rocblas_check_numerics_s.num_agpr, 0
	.set _ZL36rocblas_check_numerics_vector_kernelILi256EPK19rocblas_complex_numIdEEviT0_lllP24rocblas_check_numerics_s.numbered_sgpr, 20
	.set _ZL36rocblas_check_numerics_vector_kernelILi256EPK19rocblas_complex_numIdEEviT0_lllP24rocblas_check_numerics_s.num_named_barrier, 0
	.set _ZL36rocblas_check_numerics_vector_kernelILi256EPK19rocblas_complex_numIdEEviT0_lllP24rocblas_check_numerics_s.private_seg_size, 0
	.set _ZL36rocblas_check_numerics_vector_kernelILi256EPK19rocblas_complex_numIdEEviT0_lllP24rocblas_check_numerics_s.uses_vcc, 1
	.set _ZL36rocblas_check_numerics_vector_kernelILi256EPK19rocblas_complex_numIdEEviT0_lllP24rocblas_check_numerics_s.uses_flat_scratch, 0
	.set _ZL36rocblas_check_numerics_vector_kernelILi256EPK19rocblas_complex_numIdEEviT0_lllP24rocblas_check_numerics_s.has_dyn_sized_stack, 0
	.set _ZL36rocblas_check_numerics_vector_kernelILi256EPK19rocblas_complex_numIdEEviT0_lllP24rocblas_check_numerics_s.has_recursion, 0
	.set _ZL36rocblas_check_numerics_vector_kernelILi256EPK19rocblas_complex_numIdEEviT0_lllP24rocblas_check_numerics_s.has_indirect_call, 0
	.section	.AMDGPU.csdata,"",@progbits
; Kernel info:
; codeLenInByte = 516
; TotalNumSgprs: 24
; NumVgprs: 7
; ScratchSize: 0
; MemoryBound: 0
; FloatMode: 240
; IeeeMode: 1
; LDSByteSize: 0 bytes/workgroup (compile time only)
; SGPRBlocks: 2
; VGPRBlocks: 1
; NumSGPRsForWavesPerEU: 24
; NumVGPRsForWavesPerEU: 7
; Occupancy: 10
; WaveLimiterHint : 0
; COMPUTE_PGM_RSRC2:SCRATCH_EN: 0
; COMPUTE_PGM_RSRC2:USER_SGPR: 6
; COMPUTE_PGM_RSRC2:TRAP_HANDLER: 0
; COMPUTE_PGM_RSRC2:TGID_X_EN: 1
; COMPUTE_PGM_RSRC2:TGID_Y_EN: 1
; COMPUTE_PGM_RSRC2:TGID_Z_EN: 0
; COMPUTE_PGM_RSRC2:TIDIG_COMP_CNT: 0
	.section	.text._ZL36rocblas_check_numerics_vector_kernelILi256EPKPK19rocblas_complex_numIdEEviT0_lllP24rocblas_check_numerics_s,"axG",@progbits,_ZL36rocblas_check_numerics_vector_kernelILi256EPKPK19rocblas_complex_numIdEEviT0_lllP24rocblas_check_numerics_s,comdat
	.globl	_ZL36rocblas_check_numerics_vector_kernelILi256EPKPK19rocblas_complex_numIdEEviT0_lllP24rocblas_check_numerics_s ; -- Begin function _ZL36rocblas_check_numerics_vector_kernelILi256EPKPK19rocblas_complex_numIdEEviT0_lllP24rocblas_check_numerics_s
	.p2align	8
	.type	_ZL36rocblas_check_numerics_vector_kernelILi256EPKPK19rocblas_complex_numIdEEviT0_lllP24rocblas_check_numerics_s,@function
_ZL36rocblas_check_numerics_vector_kernelILi256EPKPK19rocblas_complex_numIdEEviT0_lllP24rocblas_check_numerics_s: ; @_ZL36rocblas_check_numerics_vector_kernelILi256EPKPK19rocblas_complex_numIdEEviT0_lllP24rocblas_check_numerics_s
; %bb.0:
	s_load_dword s2, s[4:5], 0x0
	s_load_dword s1, s[4:5], 0x3c
	v_mov_b32_e32 v1, 0
	s_waitcnt lgkmcnt(0)
	s_ashr_i32 s3, s2, 31
	s_and_b32 s1, s1, 0xffff
	s_mul_i32 s6, s6, s1
	v_add_u32_e32 v0, s6, v0
	v_cmp_gt_i64_e32 vcc, s[2:3], v[0:1]
	s_and_saveexec_b64 s[2:3], vcc
	s_cbranch_execz .LBB15_16
; %bb.1:
	s_mov_b32 s0, s7
	s_load_dwordx4 s[8:11], s[4:5], 0x8
	s_load_dwordx2 s[2:3], s[4:5], 0x18
	s_load_dwordx2 s[6:7], s[4:5], 0x28
	s_mov_b32 s1, 0
	s_lshl_b64 s[0:1], s[0:1], 3
	s_waitcnt lgkmcnt(0)
	s_add_u32 s0, s8, s0
	v_mad_u64_u32 v[2:3], s[4:5], s2, v0, 0
	s_addc_u32 s1, s9, s1
	s_load_dwordx2 s[0:1], s[0:1], 0x0
	v_mad_u64_u32 v[3:4], s[2:3], s3, v0, v[3:4]
	s_lshl_b64 s[2:3], s[10:11], 4
	global_load_ubyte v5, v1, s[6:7] offset:1
	s_waitcnt lgkmcnt(0)
	s_add_u32 s0, s0, s2
	v_lshlrev_b64 v[2:3], 4, v[2:3]
	s_addc_u32 s1, s1, s3
	v_mov_b32_e32 v4, s1
	v_add_co_u32_e32 v0, vcc, s0, v2
	v_addc_co_u32_e32 v1, vcc, v4, v3, vcc
	flat_load_dwordx4 v[0:3], v[0:1]
	s_waitcnt vmcnt(0)
	v_and_b32_e32 v4, 1, v5
	v_cmp_eq_u32_e32 vcc, 1, v4
	s_cbranch_vccnz .LBB15_5
; %bb.2:
	s_waitcnt lgkmcnt(0)
	v_cmp_eq_f64_e32 vcc, 0, v[0:1]
	v_cmp_eq_f64_e64 s[0:1], 0, v[2:3]
	s_and_b64 s[2:3], vcc, s[0:1]
	s_and_saveexec_b64 s[0:1], s[2:3]
	s_cbranch_execz .LBB15_4
; %bb.3:
	v_mov_b32_e32 v4, 0
	v_mov_b32_e32 v5, 1
	global_store_byte v4, v5, s[6:7] offset:1
.LBB15_4:
	s_or_b64 exec, exec, s[0:1]
.LBB15_5:
	v_mov_b32_e32 v4, 0
	global_load_ubyte v5, v4, s[6:7]
	s_waitcnt vmcnt(0)
	v_and_b32_e32 v5, 1, v5
	v_cmp_eq_u32_e32 vcc, 1, v5
	s_cbranch_vccnz .LBB15_9
; %bb.6:
	s_waitcnt lgkmcnt(0)
	v_cmp_u_f64_e32 vcc, v[0:1], v[2:3]
	s_and_saveexec_b64 s[0:1], vcc
	s_cbranch_execz .LBB15_8
; %bb.7:
	v_mov_b32_e32 v5, 0
	v_mov_b32_e32 v6, 1
	global_store_byte v5, v6, s[6:7]
.LBB15_8:
	s_or_b64 exec, exec, s[0:1]
.LBB15_9:
	global_load_ubyte v4, v4, s[6:7] offset:2
	s_waitcnt vmcnt(0)
	v_and_b32_e32 v4, 1, v4
	v_cmp_eq_u32_e32 vcc, 1, v4
	s_cbranch_vccnz .LBB15_13
; %bb.10:
	s_movk_i32 s2, 0x204
	s_waitcnt lgkmcnt(0)
	v_cmp_class_f64_e64 s[0:1], v[0:1], s2
	v_cmp_class_f64_e64 s[2:3], v[2:3], s2
	s_or_b64 s[2:3], s[0:1], s[2:3]
	s_and_saveexec_b64 s[0:1], s[2:3]
	s_cbranch_execz .LBB15_12
; %bb.11:
	v_mov_b32_e32 v4, 0
	v_mov_b32_e32 v5, 1
	global_store_byte v4, v5, s[6:7] offset:2
.LBB15_12:
	s_or_b64 exec, exec, s[0:1]
.LBB15_13:
	v_mov_b32_e32 v4, 0
	global_load_ubyte v4, v4, s[6:7] offset:3
	s_waitcnt vmcnt(0)
	v_and_b32_e32 v4, 1, v4
	v_cmp_eq_u32_e32 vcc, 1, v4
	s_cbranch_vccnz .LBB15_16
; %bb.14:
	s_waitcnt lgkmcnt(0)
	v_cmp_gt_f64_e32 vcc, 0, v[0:1]
	v_cmp_gt_f64_e64 s[2:3], 0, v[2:3]
	v_xor_b32_e32 v4, 0x80000000, v1
	s_mov_b32 s4, 0
	s_mov_b32 s5, 0x100000
	v_cndmask_b32_e32 v1, v1, v4, vcc
	v_cmp_le_f64_e32 vcc, 1, v[0:1]
	v_cmp_gt_f64_e64 s[0:1], s[4:5], v[0:1]
	v_xor_b32_e32 v0, 0x80000000, v3
	v_cndmask_b32_e64 v3, v3, v0, s[2:3]
	v_cmp_le_f64_e64 s[2:3], 1, v[2:3]
	v_cmp_gt_f64_e64 s[4:5], s[4:5], v[2:3]
	s_and_b64 s[0:1], vcc, s[0:1]
	s_and_b64 s[2:3], s[2:3], s[4:5]
	s_or_b64 s[0:1], s[0:1], s[2:3]
	s_and_b64 exec, exec, s[0:1]
	s_cbranch_execz .LBB15_16
; %bb.15:
	v_mov_b32_e32 v0, 0
	v_mov_b32_e32 v1, 1
	global_store_byte v0, v1, s[6:7] offset:3
.LBB15_16:
	s_endpgm
	.section	.rodata,"a",@progbits
	.p2align	6, 0x0
	.amdhsa_kernel _ZL36rocblas_check_numerics_vector_kernelILi256EPKPK19rocblas_complex_numIdEEviT0_lllP24rocblas_check_numerics_s
		.amdhsa_group_segment_fixed_size 0
		.amdhsa_private_segment_fixed_size 0
		.amdhsa_kernarg_size 304
		.amdhsa_user_sgpr_count 6
		.amdhsa_user_sgpr_private_segment_buffer 1
		.amdhsa_user_sgpr_dispatch_ptr 0
		.amdhsa_user_sgpr_queue_ptr 0
		.amdhsa_user_sgpr_kernarg_segment_ptr 1
		.amdhsa_user_sgpr_dispatch_id 0
		.amdhsa_user_sgpr_flat_scratch_init 0
		.amdhsa_user_sgpr_private_segment_size 0
		.amdhsa_uses_dynamic_stack 0
		.amdhsa_system_sgpr_private_segment_wavefront_offset 0
		.amdhsa_system_sgpr_workgroup_id_x 1
		.amdhsa_system_sgpr_workgroup_id_y 1
		.amdhsa_system_sgpr_workgroup_id_z 0
		.amdhsa_system_sgpr_workgroup_info 0
		.amdhsa_system_vgpr_workitem_id 0
		.amdhsa_next_free_vgpr 7
		.amdhsa_next_free_sgpr 12
		.amdhsa_reserve_vcc 1
		.amdhsa_reserve_flat_scratch 0
		.amdhsa_float_round_mode_32 0
		.amdhsa_float_round_mode_16_64 0
		.amdhsa_float_denorm_mode_32 3
		.amdhsa_float_denorm_mode_16_64 3
		.amdhsa_dx10_clamp 1
		.amdhsa_ieee_mode 1
		.amdhsa_fp16_overflow 0
		.amdhsa_exception_fp_ieee_invalid_op 0
		.amdhsa_exception_fp_denorm_src 0
		.amdhsa_exception_fp_ieee_div_zero 0
		.amdhsa_exception_fp_ieee_overflow 0
		.amdhsa_exception_fp_ieee_underflow 0
		.amdhsa_exception_fp_ieee_inexact 0
		.amdhsa_exception_int_div_zero 0
	.end_amdhsa_kernel
	.section	.text._ZL36rocblas_check_numerics_vector_kernelILi256EPKPK19rocblas_complex_numIdEEviT0_lllP24rocblas_check_numerics_s,"axG",@progbits,_ZL36rocblas_check_numerics_vector_kernelILi256EPKPK19rocblas_complex_numIdEEviT0_lllP24rocblas_check_numerics_s,comdat
.Lfunc_end15:
	.size	_ZL36rocblas_check_numerics_vector_kernelILi256EPKPK19rocblas_complex_numIdEEviT0_lllP24rocblas_check_numerics_s, .Lfunc_end15-_ZL36rocblas_check_numerics_vector_kernelILi256EPKPK19rocblas_complex_numIdEEviT0_lllP24rocblas_check_numerics_s
                                        ; -- End function
	.set _ZL36rocblas_check_numerics_vector_kernelILi256EPKPK19rocblas_complex_numIdEEviT0_lllP24rocblas_check_numerics_s.num_vgpr, 7
	.set _ZL36rocblas_check_numerics_vector_kernelILi256EPKPK19rocblas_complex_numIdEEviT0_lllP24rocblas_check_numerics_s.num_agpr, 0
	.set _ZL36rocblas_check_numerics_vector_kernelILi256EPKPK19rocblas_complex_numIdEEviT0_lllP24rocblas_check_numerics_s.numbered_sgpr, 12
	.set _ZL36rocblas_check_numerics_vector_kernelILi256EPKPK19rocblas_complex_numIdEEviT0_lllP24rocblas_check_numerics_s.num_named_barrier, 0
	.set _ZL36rocblas_check_numerics_vector_kernelILi256EPKPK19rocblas_complex_numIdEEviT0_lllP24rocblas_check_numerics_s.private_seg_size, 0
	.set _ZL36rocblas_check_numerics_vector_kernelILi256EPKPK19rocblas_complex_numIdEEviT0_lllP24rocblas_check_numerics_s.uses_vcc, 1
	.set _ZL36rocblas_check_numerics_vector_kernelILi256EPKPK19rocblas_complex_numIdEEviT0_lllP24rocblas_check_numerics_s.uses_flat_scratch, 0
	.set _ZL36rocblas_check_numerics_vector_kernelILi256EPKPK19rocblas_complex_numIdEEviT0_lllP24rocblas_check_numerics_s.has_dyn_sized_stack, 0
	.set _ZL36rocblas_check_numerics_vector_kernelILi256EPKPK19rocblas_complex_numIdEEviT0_lllP24rocblas_check_numerics_s.has_recursion, 0
	.set _ZL36rocblas_check_numerics_vector_kernelILi256EPKPK19rocblas_complex_numIdEEviT0_lllP24rocblas_check_numerics_s.has_indirect_call, 0
	.section	.AMDGPU.csdata,"",@progbits
; Kernel info:
; codeLenInByte = 540
; TotalNumSgprs: 16
; NumVgprs: 7
; ScratchSize: 0
; MemoryBound: 0
; FloatMode: 240
; IeeeMode: 1
; LDSByteSize: 0 bytes/workgroup (compile time only)
; SGPRBlocks: 1
; VGPRBlocks: 1
; NumSGPRsForWavesPerEU: 16
; NumVGPRsForWavesPerEU: 7
; Occupancy: 10
; WaveLimiterHint : 1
; COMPUTE_PGM_RSRC2:SCRATCH_EN: 0
; COMPUTE_PGM_RSRC2:USER_SGPR: 6
; COMPUTE_PGM_RSRC2:TRAP_HANDLER: 0
; COMPUTE_PGM_RSRC2:TGID_X_EN: 1
; COMPUTE_PGM_RSRC2:TGID_Y_EN: 1
; COMPUTE_PGM_RSRC2:TGID_Z_EN: 0
; COMPUTE_PGM_RSRC2:TIDIG_COMP_CNT: 0
	.section	.text._ZL36rocblas_check_numerics_vector_kernelILi256EPDF16_EviT0_lllP24rocblas_check_numerics_s,"axG",@progbits,_ZL36rocblas_check_numerics_vector_kernelILi256EPDF16_EviT0_lllP24rocblas_check_numerics_s,comdat
	.globl	_ZL36rocblas_check_numerics_vector_kernelILi256EPDF16_EviT0_lllP24rocblas_check_numerics_s ; -- Begin function _ZL36rocblas_check_numerics_vector_kernelILi256EPDF16_EviT0_lllP24rocblas_check_numerics_s
	.p2align	8
	.type	_ZL36rocblas_check_numerics_vector_kernelILi256EPDF16_EviT0_lllP24rocblas_check_numerics_s,@function
_ZL36rocblas_check_numerics_vector_kernelILi256EPDF16_EviT0_lllP24rocblas_check_numerics_s: ; @_ZL36rocblas_check_numerics_vector_kernelILi256EPDF16_EviT0_lllP24rocblas_check_numerics_s
; %bb.0:
	s_load_dword s0, s[4:5], 0x0
	s_load_dword s2, s[4:5], 0x3c
	v_mov_b32_e32 v1, 0
	s_waitcnt lgkmcnt(0)
	s_ashr_i32 s1, s0, 31
	s_and_b32 s2, s2, 0xffff
	s_mul_i32 s6, s6, s2
	v_add_u32_e32 v0, s6, v0
	v_cmp_gt_i64_e32 vcc, s[0:1], v[0:1]
	s_and_saveexec_b64 s[0:1], vcc
	s_cbranch_execz .LBB16_12
; %bb.1:
	s_load_dwordx8 s[8:15], s[4:5], 0x8
	s_load_dwordx2 s[2:3], s[4:5], 0x28
	s_waitcnt lgkmcnt(0)
	s_mul_i32 s1, s15, s7
	s_mul_hi_u32 s4, s14, s7
	s_add_i32 s1, s4, s1
	v_mad_u64_u32 v[2:3], s[4:5], s12, v0, 0
	s_mul_i32 s0, s14, s7
	s_lshl_b64 s[0:1], s[0:1], 1
	s_add_u32 s4, s8, s0
	s_addc_u32 s5, s9, s1
	v_mad_u64_u32 v[3:4], s[0:1], s13, v0, v[3:4]
	s_lshl_b64 s[0:1], s[10:11], 1
	s_add_u32 s0, s4, s0
	v_lshlrev_b64 v[2:3], 1, v[2:3]
	s_addc_u32 s1, s5, s1
	global_load_ubyte v5, v1, s[2:3] offset:1
	v_mov_b32_e32 v4, s1
	v_add_co_u32_e32 v0, vcc, s0, v2
	v_addc_co_u32_e32 v1, vcc, v4, v3, vcc
	global_load_ushort v0, v[0:1], off
	s_waitcnt vmcnt(1)
	v_readfirstlane_b32 s0, v5
	s_bitcmp1_b32 s0, 0
	s_cselect_b64 s[0:1], -1, 0
	s_xor_b64 s[0:1], s[0:1], -1
	s_waitcnt vmcnt(0)
	v_cmp_eq_f16_e32 vcc, 0, v0
	s_and_b64 s[4:5], s[0:1], vcc
	s_and_saveexec_b64 s[0:1], s[4:5]
	s_cbranch_execz .LBB16_3
; %bb.2:
	v_mov_b32_e32 v1, 0
	v_mov_b32_e32 v2, 1
	global_store_byte v1, v2, s[2:3] offset:1
.LBB16_3:
	s_or_b64 exec, exec, s[0:1]
	v_mov_b32_e32 v1, 0
	global_load_ubyte v2, v1, s[2:3]
	s_waitcnt vmcnt(0)
	v_and_b32_e32 v2, 1, v2
	v_cmp_eq_u32_e32 vcc, 1, v2
	s_cbranch_vccnz .LBB16_7
; %bb.4:
	s_movk_i32 s0, 0x7c00
	v_and_b32_sdwa v2, v0, s0 dst_sel:DWORD dst_unused:UNUSED_PAD src0_sel:WORD_0 src1_sel:DWORD
	v_cmp_eq_u32_e32 vcc, s0, v2
	s_movk_i32 s0, 0x3ff
	v_and_b32_sdwa v2, v0, s0 dst_sel:DWORD dst_unused:UNUSED_PAD src0_sel:WORD_0 src1_sel:DWORD
	v_cmp_ne_u32_e64 s[0:1], 0, v2
	s_and_b64 s[4:5], vcc, s[0:1]
	s_and_saveexec_b64 s[0:1], s[4:5]
	s_cbranch_execz .LBB16_6
; %bb.5:
	v_mov_b32_e32 v2, 0
	v_mov_b32_e32 v3, 1
	global_store_byte v2, v3, s[2:3]
.LBB16_6:
	s_or_b64 exec, exec, s[0:1]
.LBB16_7:
	global_load_ubyte v1, v1, s[2:3] offset:2
	s_movk_i32 s4, 0x204
	v_cmp_class_f16_e64 s[4:5], v0, s4
	s_waitcnt vmcnt(0)
	v_readfirstlane_b32 s0, v1
	s_bitcmp1_b32 s0, 0
	s_cselect_b64 s[0:1], -1, 0
	s_xor_b64 s[0:1], s[0:1], -1
	s_and_b64 s[4:5], s[0:1], s[4:5]
	s_and_saveexec_b64 s[0:1], s[4:5]
	s_cbranch_execz .LBB16_9
; %bb.8:
	v_mov_b32_e32 v1, 0
	v_mov_b32_e32 v2, 1
	global_store_byte v1, v2, s[2:3] offset:2
.LBB16_9:
	s_or_b64 exec, exec, s[0:1]
	v_mov_b32_e32 v1, 0
	global_load_ubyte v1, v1, s[2:3] offset:3
	s_waitcnt vmcnt(0)
	v_and_b32_e32 v1, 1, v1
	v_cmp_eq_u32_e32 vcc, 1, v1
	s_cbranch_vccnz .LBB16_12
; %bb.10:
	v_and_b32_e32 v0, 0x7fff, v0
	v_add_u16_e32 v0, -1, v0
	s_movk_i32 s0, 0x3ff
	v_cmp_gt_u16_e32 vcc, s0, v0
	s_and_b64 exec, exec, vcc
	s_cbranch_execz .LBB16_12
; %bb.11:
	v_mov_b32_e32 v0, 0
	v_mov_b32_e32 v1, 1
	global_store_byte v0, v1, s[2:3] offset:3
.LBB16_12:
	s_endpgm
	.section	.rodata,"a",@progbits
	.p2align	6, 0x0
	.amdhsa_kernel _ZL36rocblas_check_numerics_vector_kernelILi256EPDF16_EviT0_lllP24rocblas_check_numerics_s
		.amdhsa_group_segment_fixed_size 0
		.amdhsa_private_segment_fixed_size 0
		.amdhsa_kernarg_size 304
		.amdhsa_user_sgpr_count 6
		.amdhsa_user_sgpr_private_segment_buffer 1
		.amdhsa_user_sgpr_dispatch_ptr 0
		.amdhsa_user_sgpr_queue_ptr 0
		.amdhsa_user_sgpr_kernarg_segment_ptr 1
		.amdhsa_user_sgpr_dispatch_id 0
		.amdhsa_user_sgpr_flat_scratch_init 0
		.amdhsa_user_sgpr_private_segment_size 0
		.amdhsa_uses_dynamic_stack 0
		.amdhsa_system_sgpr_private_segment_wavefront_offset 0
		.amdhsa_system_sgpr_workgroup_id_x 1
		.amdhsa_system_sgpr_workgroup_id_y 1
		.amdhsa_system_sgpr_workgroup_id_z 0
		.amdhsa_system_sgpr_workgroup_info 0
		.amdhsa_system_vgpr_workitem_id 0
		.amdhsa_next_free_vgpr 6
		.amdhsa_next_free_sgpr 16
		.amdhsa_reserve_vcc 1
		.amdhsa_reserve_flat_scratch 0
		.amdhsa_float_round_mode_32 0
		.amdhsa_float_round_mode_16_64 0
		.amdhsa_float_denorm_mode_32 3
		.amdhsa_float_denorm_mode_16_64 3
		.amdhsa_dx10_clamp 1
		.amdhsa_ieee_mode 1
		.amdhsa_fp16_overflow 0
		.amdhsa_exception_fp_ieee_invalid_op 0
		.amdhsa_exception_fp_denorm_src 0
		.amdhsa_exception_fp_ieee_div_zero 0
		.amdhsa_exception_fp_ieee_overflow 0
		.amdhsa_exception_fp_ieee_underflow 0
		.amdhsa_exception_fp_ieee_inexact 0
		.amdhsa_exception_int_div_zero 0
	.end_amdhsa_kernel
	.section	.text._ZL36rocblas_check_numerics_vector_kernelILi256EPDF16_EviT0_lllP24rocblas_check_numerics_s,"axG",@progbits,_ZL36rocblas_check_numerics_vector_kernelILi256EPDF16_EviT0_lllP24rocblas_check_numerics_s,comdat
.Lfunc_end16:
	.size	_ZL36rocblas_check_numerics_vector_kernelILi256EPDF16_EviT0_lllP24rocblas_check_numerics_s, .Lfunc_end16-_ZL36rocblas_check_numerics_vector_kernelILi256EPDF16_EviT0_lllP24rocblas_check_numerics_s
                                        ; -- End function
	.set _ZL36rocblas_check_numerics_vector_kernelILi256EPDF16_EviT0_lllP24rocblas_check_numerics_s.num_vgpr, 6
	.set _ZL36rocblas_check_numerics_vector_kernelILi256EPDF16_EviT0_lllP24rocblas_check_numerics_s.num_agpr, 0
	.set _ZL36rocblas_check_numerics_vector_kernelILi256EPDF16_EviT0_lllP24rocblas_check_numerics_s.numbered_sgpr, 16
	.set _ZL36rocblas_check_numerics_vector_kernelILi256EPDF16_EviT0_lllP24rocblas_check_numerics_s.num_named_barrier, 0
	.set _ZL36rocblas_check_numerics_vector_kernelILi256EPDF16_EviT0_lllP24rocblas_check_numerics_s.private_seg_size, 0
	.set _ZL36rocblas_check_numerics_vector_kernelILi256EPDF16_EviT0_lllP24rocblas_check_numerics_s.uses_vcc, 1
	.set _ZL36rocblas_check_numerics_vector_kernelILi256EPDF16_EviT0_lllP24rocblas_check_numerics_s.uses_flat_scratch, 0
	.set _ZL36rocblas_check_numerics_vector_kernelILi256EPDF16_EviT0_lllP24rocblas_check_numerics_s.has_dyn_sized_stack, 0
	.set _ZL36rocblas_check_numerics_vector_kernelILi256EPDF16_EviT0_lllP24rocblas_check_numerics_s.has_recursion, 0
	.set _ZL36rocblas_check_numerics_vector_kernelILi256EPDF16_EviT0_lllP24rocblas_check_numerics_s.has_indirect_call, 0
	.section	.AMDGPU.csdata,"",@progbits
; Kernel info:
; codeLenInByte = 472
; TotalNumSgprs: 20
; NumVgprs: 6
; ScratchSize: 0
; MemoryBound: 0
; FloatMode: 240
; IeeeMode: 1
; LDSByteSize: 0 bytes/workgroup (compile time only)
; SGPRBlocks: 2
; VGPRBlocks: 1
; NumSGPRsForWavesPerEU: 20
; NumVGPRsForWavesPerEU: 6
; Occupancy: 10
; WaveLimiterHint : 0
; COMPUTE_PGM_RSRC2:SCRATCH_EN: 0
; COMPUTE_PGM_RSRC2:USER_SGPR: 6
; COMPUTE_PGM_RSRC2:TRAP_HANDLER: 0
; COMPUTE_PGM_RSRC2:TGID_X_EN: 1
; COMPUTE_PGM_RSRC2:TGID_Y_EN: 1
; COMPUTE_PGM_RSRC2:TGID_Z_EN: 0
; COMPUTE_PGM_RSRC2:TIDIG_COMP_CNT: 0
	.section	.text._ZL36rocblas_check_numerics_vector_kernelILi256EPKPDF16_EviT0_lllP24rocblas_check_numerics_s,"axG",@progbits,_ZL36rocblas_check_numerics_vector_kernelILi256EPKPDF16_EviT0_lllP24rocblas_check_numerics_s,comdat
	.globl	_ZL36rocblas_check_numerics_vector_kernelILi256EPKPDF16_EviT0_lllP24rocblas_check_numerics_s ; -- Begin function _ZL36rocblas_check_numerics_vector_kernelILi256EPKPDF16_EviT0_lllP24rocblas_check_numerics_s
	.p2align	8
	.type	_ZL36rocblas_check_numerics_vector_kernelILi256EPKPDF16_EviT0_lllP24rocblas_check_numerics_s,@function
_ZL36rocblas_check_numerics_vector_kernelILi256EPKPDF16_EviT0_lllP24rocblas_check_numerics_s: ; @_ZL36rocblas_check_numerics_vector_kernelILi256EPKPDF16_EviT0_lllP24rocblas_check_numerics_s
; %bb.0:
	s_load_dword s2, s[4:5], 0x0
	s_load_dword s1, s[4:5], 0x3c
	v_mov_b32_e32 v1, 0
	s_waitcnt lgkmcnt(0)
	s_ashr_i32 s3, s2, 31
	s_and_b32 s1, s1, 0xffff
	s_mul_i32 s6, s6, s1
	v_add_u32_e32 v0, s6, v0
	v_cmp_gt_i64_e32 vcc, s[2:3], v[0:1]
	s_and_saveexec_b64 s[2:3], vcc
	s_cbranch_execz .LBB17_12
; %bb.1:
	s_mov_b32 s0, s7
	s_load_dwordx4 s[8:11], s[4:5], 0x8
	s_load_dwordx2 s[6:7], s[4:5], 0x18
	s_load_dwordx2 s[2:3], s[4:5], 0x28
	s_mov_b32 s1, 0
	s_lshl_b64 s[0:1], s[0:1], 3
	s_waitcnt lgkmcnt(0)
	s_add_u32 s0, s8, s0
	v_mad_u64_u32 v[2:3], s[4:5], s6, v0, 0
	s_addc_u32 s1, s9, s1
	s_load_dwordx2 s[0:1], s[0:1], 0x0
	v_mad_u64_u32 v[3:4], s[4:5], s7, v0, v[3:4]
	s_lshl_b64 s[4:5], s[10:11], 1
	global_load_ubyte v5, v1, s[2:3] offset:1
	s_waitcnt lgkmcnt(0)
	s_add_u32 s0, s0, s4
	v_lshlrev_b64 v[2:3], 1, v[2:3]
	s_addc_u32 s1, s1, s5
	v_mov_b32_e32 v4, s1
	v_add_co_u32_e32 v0, vcc, s0, v2
	v_addc_co_u32_e32 v1, vcc, v4, v3, vcc
	flat_load_ushort v0, v[0:1]
	s_waitcnt vmcnt(0)
	v_readfirstlane_b32 s0, v5
	s_bitcmp1_b32 s0, 0
	s_cselect_b64 s[0:1], -1, 0
	s_xor_b64 s[0:1], s[0:1], -1
	s_waitcnt lgkmcnt(0)
	v_cmp_eq_f16_e32 vcc, 0, v0
	s_and_b64 s[4:5], s[0:1], vcc
	s_and_saveexec_b64 s[0:1], s[4:5]
	s_cbranch_execz .LBB17_3
; %bb.2:
	v_mov_b32_e32 v1, 0
	v_mov_b32_e32 v2, 1
	global_store_byte v1, v2, s[2:3] offset:1
.LBB17_3:
	s_or_b64 exec, exec, s[0:1]
	v_mov_b32_e32 v1, 0
	global_load_ubyte v2, v1, s[2:3]
	s_waitcnt vmcnt(0)
	v_and_b32_e32 v2, 1, v2
	v_cmp_eq_u32_e32 vcc, 1, v2
	s_cbranch_vccnz .LBB17_7
; %bb.4:
	s_movk_i32 s0, 0x7c00
	v_and_b32_sdwa v2, v0, s0 dst_sel:DWORD dst_unused:UNUSED_PAD src0_sel:WORD_0 src1_sel:DWORD
	v_cmp_eq_u32_e32 vcc, s0, v2
	s_movk_i32 s0, 0x3ff
	v_and_b32_sdwa v2, v0, s0 dst_sel:DWORD dst_unused:UNUSED_PAD src0_sel:WORD_0 src1_sel:DWORD
	v_cmp_ne_u32_e64 s[0:1], 0, v2
	s_and_b64 s[4:5], vcc, s[0:1]
	s_and_saveexec_b64 s[0:1], s[4:5]
	s_cbranch_execz .LBB17_6
; %bb.5:
	v_mov_b32_e32 v2, 0
	v_mov_b32_e32 v3, 1
	global_store_byte v2, v3, s[2:3]
.LBB17_6:
	s_or_b64 exec, exec, s[0:1]
.LBB17_7:
	global_load_ubyte v1, v1, s[2:3] offset:2
	s_movk_i32 s4, 0x204
	v_cmp_class_f16_e64 s[4:5], v0, s4
	s_waitcnt vmcnt(0)
	v_readfirstlane_b32 s0, v1
	s_bitcmp1_b32 s0, 0
	s_cselect_b64 s[0:1], -1, 0
	s_xor_b64 s[0:1], s[0:1], -1
	s_and_b64 s[4:5], s[0:1], s[4:5]
	s_and_saveexec_b64 s[0:1], s[4:5]
	s_cbranch_execz .LBB17_9
; %bb.8:
	v_mov_b32_e32 v1, 0
	v_mov_b32_e32 v2, 1
	global_store_byte v1, v2, s[2:3] offset:2
.LBB17_9:
	s_or_b64 exec, exec, s[0:1]
	v_mov_b32_e32 v1, 0
	global_load_ubyte v1, v1, s[2:3] offset:3
	s_waitcnt vmcnt(0)
	v_and_b32_e32 v1, 1, v1
	v_cmp_eq_u32_e32 vcc, 1, v1
	s_cbranch_vccnz .LBB17_12
; %bb.10:
	v_and_b32_e32 v0, 0x7fff, v0
	v_add_u16_e32 v0, -1, v0
	s_movk_i32 s0, 0x3ff
	v_cmp_gt_u16_e32 vcc, s0, v0
	s_and_b64 exec, exec, vcc
	s_cbranch_execz .LBB17_12
; %bb.11:
	v_mov_b32_e32 v0, 0
	v_mov_b32_e32 v1, 1
	global_store_byte v0, v1, s[2:3] offset:3
.LBB17_12:
	s_endpgm
	.section	.rodata,"a",@progbits
	.p2align	6, 0x0
	.amdhsa_kernel _ZL36rocblas_check_numerics_vector_kernelILi256EPKPDF16_EviT0_lllP24rocblas_check_numerics_s
		.amdhsa_group_segment_fixed_size 0
		.amdhsa_private_segment_fixed_size 0
		.amdhsa_kernarg_size 304
		.amdhsa_user_sgpr_count 6
		.amdhsa_user_sgpr_private_segment_buffer 1
		.amdhsa_user_sgpr_dispatch_ptr 0
		.amdhsa_user_sgpr_queue_ptr 0
		.amdhsa_user_sgpr_kernarg_segment_ptr 1
		.amdhsa_user_sgpr_dispatch_id 0
		.amdhsa_user_sgpr_flat_scratch_init 0
		.amdhsa_user_sgpr_private_segment_size 0
		.amdhsa_uses_dynamic_stack 0
		.amdhsa_system_sgpr_private_segment_wavefront_offset 0
		.amdhsa_system_sgpr_workgroup_id_x 1
		.amdhsa_system_sgpr_workgroup_id_y 1
		.amdhsa_system_sgpr_workgroup_id_z 0
		.amdhsa_system_sgpr_workgroup_info 0
		.amdhsa_system_vgpr_workitem_id 0
		.amdhsa_next_free_vgpr 6
		.amdhsa_next_free_sgpr 12
		.amdhsa_reserve_vcc 1
		.amdhsa_reserve_flat_scratch 0
		.amdhsa_float_round_mode_32 0
		.amdhsa_float_round_mode_16_64 0
		.amdhsa_float_denorm_mode_32 3
		.amdhsa_float_denorm_mode_16_64 3
		.amdhsa_dx10_clamp 1
		.amdhsa_ieee_mode 1
		.amdhsa_fp16_overflow 0
		.amdhsa_exception_fp_ieee_invalid_op 0
		.amdhsa_exception_fp_denorm_src 0
		.amdhsa_exception_fp_ieee_div_zero 0
		.amdhsa_exception_fp_ieee_overflow 0
		.amdhsa_exception_fp_ieee_underflow 0
		.amdhsa_exception_fp_ieee_inexact 0
		.amdhsa_exception_int_div_zero 0
	.end_amdhsa_kernel
	.section	.text._ZL36rocblas_check_numerics_vector_kernelILi256EPKPDF16_EviT0_lllP24rocblas_check_numerics_s,"axG",@progbits,_ZL36rocblas_check_numerics_vector_kernelILi256EPKPDF16_EviT0_lllP24rocblas_check_numerics_s,comdat
.Lfunc_end17:
	.size	_ZL36rocblas_check_numerics_vector_kernelILi256EPKPDF16_EviT0_lllP24rocblas_check_numerics_s, .Lfunc_end17-_ZL36rocblas_check_numerics_vector_kernelILi256EPKPDF16_EviT0_lllP24rocblas_check_numerics_s
                                        ; -- End function
	.set _ZL36rocblas_check_numerics_vector_kernelILi256EPKPDF16_EviT0_lllP24rocblas_check_numerics_s.num_vgpr, 6
	.set _ZL36rocblas_check_numerics_vector_kernelILi256EPKPDF16_EviT0_lllP24rocblas_check_numerics_s.num_agpr, 0
	.set _ZL36rocblas_check_numerics_vector_kernelILi256EPKPDF16_EviT0_lllP24rocblas_check_numerics_s.numbered_sgpr, 12
	.set _ZL36rocblas_check_numerics_vector_kernelILi256EPKPDF16_EviT0_lllP24rocblas_check_numerics_s.num_named_barrier, 0
	.set _ZL36rocblas_check_numerics_vector_kernelILi256EPKPDF16_EviT0_lllP24rocblas_check_numerics_s.private_seg_size, 0
	.set _ZL36rocblas_check_numerics_vector_kernelILi256EPKPDF16_EviT0_lllP24rocblas_check_numerics_s.uses_vcc, 1
	.set _ZL36rocblas_check_numerics_vector_kernelILi256EPKPDF16_EviT0_lllP24rocblas_check_numerics_s.uses_flat_scratch, 0
	.set _ZL36rocblas_check_numerics_vector_kernelILi256EPKPDF16_EviT0_lllP24rocblas_check_numerics_s.has_dyn_sized_stack, 0
	.set _ZL36rocblas_check_numerics_vector_kernelILi256EPKPDF16_EviT0_lllP24rocblas_check_numerics_s.has_recursion, 0
	.set _ZL36rocblas_check_numerics_vector_kernelILi256EPKPDF16_EviT0_lllP24rocblas_check_numerics_s.has_indirect_call, 0
	.section	.AMDGPU.csdata,"",@progbits
; Kernel info:
; codeLenInByte = 484
; TotalNumSgprs: 16
; NumVgprs: 6
; ScratchSize: 0
; MemoryBound: 0
; FloatMode: 240
; IeeeMode: 1
; LDSByteSize: 0 bytes/workgroup (compile time only)
; SGPRBlocks: 1
; VGPRBlocks: 1
; NumSGPRsForWavesPerEU: 16
; NumVGPRsForWavesPerEU: 6
; Occupancy: 10
; WaveLimiterHint : 1
; COMPUTE_PGM_RSRC2:SCRATCH_EN: 0
; COMPUTE_PGM_RSRC2:USER_SGPR: 6
; COMPUTE_PGM_RSRC2:TRAP_HANDLER: 0
; COMPUTE_PGM_RSRC2:TGID_X_EN: 1
; COMPUTE_PGM_RSRC2:TGID_Y_EN: 1
; COMPUTE_PGM_RSRC2:TGID_Z_EN: 0
; COMPUTE_PGM_RSRC2:TIDIG_COMP_CNT: 0
	.section	.text._ZL36rocblas_check_numerics_vector_kernelILi256EPKDF16_EviT0_lllP24rocblas_check_numerics_s,"axG",@progbits,_ZL36rocblas_check_numerics_vector_kernelILi256EPKDF16_EviT0_lllP24rocblas_check_numerics_s,comdat
	.globl	_ZL36rocblas_check_numerics_vector_kernelILi256EPKDF16_EviT0_lllP24rocblas_check_numerics_s ; -- Begin function _ZL36rocblas_check_numerics_vector_kernelILi256EPKDF16_EviT0_lllP24rocblas_check_numerics_s
	.p2align	8
	.type	_ZL36rocblas_check_numerics_vector_kernelILi256EPKDF16_EviT0_lllP24rocblas_check_numerics_s,@function
_ZL36rocblas_check_numerics_vector_kernelILi256EPKDF16_EviT0_lllP24rocblas_check_numerics_s: ; @_ZL36rocblas_check_numerics_vector_kernelILi256EPKDF16_EviT0_lllP24rocblas_check_numerics_s
; %bb.0:
	s_load_dword s0, s[4:5], 0x0
	s_load_dword s2, s[4:5], 0x3c
	v_mov_b32_e32 v1, 0
	s_waitcnt lgkmcnt(0)
	s_ashr_i32 s1, s0, 31
	s_and_b32 s2, s2, 0xffff
	s_mul_i32 s6, s6, s2
	v_add_u32_e32 v0, s6, v0
	v_cmp_gt_i64_e32 vcc, s[0:1], v[0:1]
	s_and_saveexec_b64 s[0:1], vcc
	s_cbranch_execz .LBB18_12
; %bb.1:
	s_load_dwordx8 s[8:15], s[4:5], 0x8
	s_load_dwordx2 s[2:3], s[4:5], 0x28
	s_waitcnt lgkmcnt(0)
	s_mul_i32 s1, s15, s7
	s_mul_hi_u32 s4, s14, s7
	s_add_i32 s1, s4, s1
	v_mad_u64_u32 v[2:3], s[4:5], s12, v0, 0
	s_mul_i32 s0, s14, s7
	s_lshl_b64 s[0:1], s[0:1], 1
	s_add_u32 s4, s8, s0
	s_addc_u32 s5, s9, s1
	v_mad_u64_u32 v[3:4], s[0:1], s13, v0, v[3:4]
	s_lshl_b64 s[0:1], s[10:11], 1
	s_add_u32 s0, s4, s0
	v_lshlrev_b64 v[2:3], 1, v[2:3]
	s_addc_u32 s1, s5, s1
	global_load_ubyte v5, v1, s[2:3] offset:1
	v_mov_b32_e32 v4, s1
	v_add_co_u32_e32 v0, vcc, s0, v2
	v_addc_co_u32_e32 v1, vcc, v4, v3, vcc
	global_load_ushort v0, v[0:1], off
	s_waitcnt vmcnt(1)
	v_readfirstlane_b32 s0, v5
	s_bitcmp1_b32 s0, 0
	s_cselect_b64 s[0:1], -1, 0
	s_xor_b64 s[0:1], s[0:1], -1
	s_waitcnt vmcnt(0)
	v_cmp_eq_f16_e32 vcc, 0, v0
	s_and_b64 s[4:5], s[0:1], vcc
	s_and_saveexec_b64 s[0:1], s[4:5]
	s_cbranch_execz .LBB18_3
; %bb.2:
	v_mov_b32_e32 v1, 0
	v_mov_b32_e32 v2, 1
	global_store_byte v1, v2, s[2:3] offset:1
.LBB18_3:
	s_or_b64 exec, exec, s[0:1]
	v_mov_b32_e32 v1, 0
	global_load_ubyte v2, v1, s[2:3]
	s_waitcnt vmcnt(0)
	v_and_b32_e32 v2, 1, v2
	v_cmp_eq_u32_e32 vcc, 1, v2
	s_cbranch_vccnz .LBB18_7
; %bb.4:
	s_movk_i32 s0, 0x7c00
	v_and_b32_sdwa v2, v0, s0 dst_sel:DWORD dst_unused:UNUSED_PAD src0_sel:WORD_0 src1_sel:DWORD
	v_cmp_eq_u32_e32 vcc, s0, v2
	s_movk_i32 s0, 0x3ff
	v_and_b32_sdwa v2, v0, s0 dst_sel:DWORD dst_unused:UNUSED_PAD src0_sel:WORD_0 src1_sel:DWORD
	v_cmp_ne_u32_e64 s[0:1], 0, v2
	s_and_b64 s[4:5], vcc, s[0:1]
	s_and_saveexec_b64 s[0:1], s[4:5]
	s_cbranch_execz .LBB18_6
; %bb.5:
	v_mov_b32_e32 v2, 0
	v_mov_b32_e32 v3, 1
	global_store_byte v2, v3, s[2:3]
.LBB18_6:
	s_or_b64 exec, exec, s[0:1]
.LBB18_7:
	global_load_ubyte v1, v1, s[2:3] offset:2
	s_movk_i32 s4, 0x204
	v_cmp_class_f16_e64 s[4:5], v0, s4
	s_waitcnt vmcnt(0)
	v_readfirstlane_b32 s0, v1
	s_bitcmp1_b32 s0, 0
	s_cselect_b64 s[0:1], -1, 0
	s_xor_b64 s[0:1], s[0:1], -1
	s_and_b64 s[4:5], s[0:1], s[4:5]
	s_and_saveexec_b64 s[0:1], s[4:5]
	s_cbranch_execz .LBB18_9
; %bb.8:
	v_mov_b32_e32 v1, 0
	v_mov_b32_e32 v2, 1
	global_store_byte v1, v2, s[2:3] offset:2
.LBB18_9:
	s_or_b64 exec, exec, s[0:1]
	v_mov_b32_e32 v1, 0
	global_load_ubyte v1, v1, s[2:3] offset:3
	s_waitcnt vmcnt(0)
	v_and_b32_e32 v1, 1, v1
	v_cmp_eq_u32_e32 vcc, 1, v1
	s_cbranch_vccnz .LBB18_12
; %bb.10:
	v_and_b32_e32 v0, 0x7fff, v0
	v_add_u16_e32 v0, -1, v0
	s_movk_i32 s0, 0x3ff
	v_cmp_gt_u16_e32 vcc, s0, v0
	s_and_b64 exec, exec, vcc
	s_cbranch_execz .LBB18_12
; %bb.11:
	v_mov_b32_e32 v0, 0
	v_mov_b32_e32 v1, 1
	global_store_byte v0, v1, s[2:3] offset:3
.LBB18_12:
	s_endpgm
	.section	.rodata,"a",@progbits
	.p2align	6, 0x0
	.amdhsa_kernel _ZL36rocblas_check_numerics_vector_kernelILi256EPKDF16_EviT0_lllP24rocblas_check_numerics_s
		.amdhsa_group_segment_fixed_size 0
		.amdhsa_private_segment_fixed_size 0
		.amdhsa_kernarg_size 304
		.amdhsa_user_sgpr_count 6
		.amdhsa_user_sgpr_private_segment_buffer 1
		.amdhsa_user_sgpr_dispatch_ptr 0
		.amdhsa_user_sgpr_queue_ptr 0
		.amdhsa_user_sgpr_kernarg_segment_ptr 1
		.amdhsa_user_sgpr_dispatch_id 0
		.amdhsa_user_sgpr_flat_scratch_init 0
		.amdhsa_user_sgpr_private_segment_size 0
		.amdhsa_uses_dynamic_stack 0
		.amdhsa_system_sgpr_private_segment_wavefront_offset 0
		.amdhsa_system_sgpr_workgroup_id_x 1
		.amdhsa_system_sgpr_workgroup_id_y 1
		.amdhsa_system_sgpr_workgroup_id_z 0
		.amdhsa_system_sgpr_workgroup_info 0
		.amdhsa_system_vgpr_workitem_id 0
		.amdhsa_next_free_vgpr 6
		.amdhsa_next_free_sgpr 16
		.amdhsa_reserve_vcc 1
		.amdhsa_reserve_flat_scratch 0
		.amdhsa_float_round_mode_32 0
		.amdhsa_float_round_mode_16_64 0
		.amdhsa_float_denorm_mode_32 3
		.amdhsa_float_denorm_mode_16_64 3
		.amdhsa_dx10_clamp 1
		.amdhsa_ieee_mode 1
		.amdhsa_fp16_overflow 0
		.amdhsa_exception_fp_ieee_invalid_op 0
		.amdhsa_exception_fp_denorm_src 0
		.amdhsa_exception_fp_ieee_div_zero 0
		.amdhsa_exception_fp_ieee_overflow 0
		.amdhsa_exception_fp_ieee_underflow 0
		.amdhsa_exception_fp_ieee_inexact 0
		.amdhsa_exception_int_div_zero 0
	.end_amdhsa_kernel
	.section	.text._ZL36rocblas_check_numerics_vector_kernelILi256EPKDF16_EviT0_lllP24rocblas_check_numerics_s,"axG",@progbits,_ZL36rocblas_check_numerics_vector_kernelILi256EPKDF16_EviT0_lllP24rocblas_check_numerics_s,comdat
.Lfunc_end18:
	.size	_ZL36rocblas_check_numerics_vector_kernelILi256EPKDF16_EviT0_lllP24rocblas_check_numerics_s, .Lfunc_end18-_ZL36rocblas_check_numerics_vector_kernelILi256EPKDF16_EviT0_lllP24rocblas_check_numerics_s
                                        ; -- End function
	.set _ZL36rocblas_check_numerics_vector_kernelILi256EPKDF16_EviT0_lllP24rocblas_check_numerics_s.num_vgpr, 6
	.set _ZL36rocblas_check_numerics_vector_kernelILi256EPKDF16_EviT0_lllP24rocblas_check_numerics_s.num_agpr, 0
	.set _ZL36rocblas_check_numerics_vector_kernelILi256EPKDF16_EviT0_lllP24rocblas_check_numerics_s.numbered_sgpr, 16
	.set _ZL36rocblas_check_numerics_vector_kernelILi256EPKDF16_EviT0_lllP24rocblas_check_numerics_s.num_named_barrier, 0
	.set _ZL36rocblas_check_numerics_vector_kernelILi256EPKDF16_EviT0_lllP24rocblas_check_numerics_s.private_seg_size, 0
	.set _ZL36rocblas_check_numerics_vector_kernelILi256EPKDF16_EviT0_lllP24rocblas_check_numerics_s.uses_vcc, 1
	.set _ZL36rocblas_check_numerics_vector_kernelILi256EPKDF16_EviT0_lllP24rocblas_check_numerics_s.uses_flat_scratch, 0
	.set _ZL36rocblas_check_numerics_vector_kernelILi256EPKDF16_EviT0_lllP24rocblas_check_numerics_s.has_dyn_sized_stack, 0
	.set _ZL36rocblas_check_numerics_vector_kernelILi256EPKDF16_EviT0_lllP24rocblas_check_numerics_s.has_recursion, 0
	.set _ZL36rocblas_check_numerics_vector_kernelILi256EPKDF16_EviT0_lllP24rocblas_check_numerics_s.has_indirect_call, 0
	.section	.AMDGPU.csdata,"",@progbits
; Kernel info:
; codeLenInByte = 472
; TotalNumSgprs: 20
; NumVgprs: 6
; ScratchSize: 0
; MemoryBound: 0
; FloatMode: 240
; IeeeMode: 1
; LDSByteSize: 0 bytes/workgroup (compile time only)
; SGPRBlocks: 2
; VGPRBlocks: 1
; NumSGPRsForWavesPerEU: 20
; NumVGPRsForWavesPerEU: 6
; Occupancy: 10
; WaveLimiterHint : 0
; COMPUTE_PGM_RSRC2:SCRATCH_EN: 0
; COMPUTE_PGM_RSRC2:USER_SGPR: 6
; COMPUTE_PGM_RSRC2:TRAP_HANDLER: 0
; COMPUTE_PGM_RSRC2:TGID_X_EN: 1
; COMPUTE_PGM_RSRC2:TGID_Y_EN: 1
; COMPUTE_PGM_RSRC2:TGID_Z_EN: 0
; COMPUTE_PGM_RSRC2:TIDIG_COMP_CNT: 0
	.section	.text._ZL36rocblas_check_numerics_vector_kernelILi256EPKPKDF16_EviT0_lllP24rocblas_check_numerics_s,"axG",@progbits,_ZL36rocblas_check_numerics_vector_kernelILi256EPKPKDF16_EviT0_lllP24rocblas_check_numerics_s,comdat
	.globl	_ZL36rocblas_check_numerics_vector_kernelILi256EPKPKDF16_EviT0_lllP24rocblas_check_numerics_s ; -- Begin function _ZL36rocblas_check_numerics_vector_kernelILi256EPKPKDF16_EviT0_lllP24rocblas_check_numerics_s
	.p2align	8
	.type	_ZL36rocblas_check_numerics_vector_kernelILi256EPKPKDF16_EviT0_lllP24rocblas_check_numerics_s,@function
_ZL36rocblas_check_numerics_vector_kernelILi256EPKPKDF16_EviT0_lllP24rocblas_check_numerics_s: ; @_ZL36rocblas_check_numerics_vector_kernelILi256EPKPKDF16_EviT0_lllP24rocblas_check_numerics_s
; %bb.0:
	s_load_dword s2, s[4:5], 0x0
	s_load_dword s1, s[4:5], 0x3c
	v_mov_b32_e32 v1, 0
	s_waitcnt lgkmcnt(0)
	s_ashr_i32 s3, s2, 31
	s_and_b32 s1, s1, 0xffff
	s_mul_i32 s6, s6, s1
	v_add_u32_e32 v0, s6, v0
	v_cmp_gt_i64_e32 vcc, s[2:3], v[0:1]
	s_and_saveexec_b64 s[2:3], vcc
	s_cbranch_execz .LBB19_12
; %bb.1:
	s_mov_b32 s0, s7
	s_load_dwordx4 s[8:11], s[4:5], 0x8
	s_load_dwordx2 s[6:7], s[4:5], 0x18
	s_load_dwordx2 s[2:3], s[4:5], 0x28
	s_mov_b32 s1, 0
	s_lshl_b64 s[0:1], s[0:1], 3
	s_waitcnt lgkmcnt(0)
	s_add_u32 s0, s8, s0
	v_mad_u64_u32 v[2:3], s[4:5], s6, v0, 0
	s_addc_u32 s1, s9, s1
	s_load_dwordx2 s[0:1], s[0:1], 0x0
	v_mad_u64_u32 v[3:4], s[4:5], s7, v0, v[3:4]
	s_lshl_b64 s[4:5], s[10:11], 1
	global_load_ubyte v5, v1, s[2:3] offset:1
	s_waitcnt lgkmcnt(0)
	s_add_u32 s0, s0, s4
	v_lshlrev_b64 v[2:3], 1, v[2:3]
	s_addc_u32 s1, s1, s5
	v_mov_b32_e32 v4, s1
	v_add_co_u32_e32 v0, vcc, s0, v2
	v_addc_co_u32_e32 v1, vcc, v4, v3, vcc
	flat_load_ushort v0, v[0:1]
	s_waitcnt vmcnt(0)
	v_readfirstlane_b32 s0, v5
	s_bitcmp1_b32 s0, 0
	s_cselect_b64 s[0:1], -1, 0
	s_xor_b64 s[0:1], s[0:1], -1
	s_waitcnt lgkmcnt(0)
	v_cmp_eq_f16_e32 vcc, 0, v0
	s_and_b64 s[4:5], s[0:1], vcc
	s_and_saveexec_b64 s[0:1], s[4:5]
	s_cbranch_execz .LBB19_3
; %bb.2:
	v_mov_b32_e32 v1, 0
	v_mov_b32_e32 v2, 1
	global_store_byte v1, v2, s[2:3] offset:1
.LBB19_3:
	s_or_b64 exec, exec, s[0:1]
	v_mov_b32_e32 v1, 0
	global_load_ubyte v2, v1, s[2:3]
	s_waitcnt vmcnt(0)
	v_and_b32_e32 v2, 1, v2
	v_cmp_eq_u32_e32 vcc, 1, v2
	s_cbranch_vccnz .LBB19_7
; %bb.4:
	s_movk_i32 s0, 0x7c00
	v_and_b32_sdwa v2, v0, s0 dst_sel:DWORD dst_unused:UNUSED_PAD src0_sel:WORD_0 src1_sel:DWORD
	v_cmp_eq_u32_e32 vcc, s0, v2
	s_movk_i32 s0, 0x3ff
	v_and_b32_sdwa v2, v0, s0 dst_sel:DWORD dst_unused:UNUSED_PAD src0_sel:WORD_0 src1_sel:DWORD
	v_cmp_ne_u32_e64 s[0:1], 0, v2
	s_and_b64 s[4:5], vcc, s[0:1]
	s_and_saveexec_b64 s[0:1], s[4:5]
	s_cbranch_execz .LBB19_6
; %bb.5:
	v_mov_b32_e32 v2, 0
	v_mov_b32_e32 v3, 1
	global_store_byte v2, v3, s[2:3]
.LBB19_6:
	s_or_b64 exec, exec, s[0:1]
.LBB19_7:
	global_load_ubyte v1, v1, s[2:3] offset:2
	s_movk_i32 s4, 0x204
	v_cmp_class_f16_e64 s[4:5], v0, s4
	s_waitcnt vmcnt(0)
	v_readfirstlane_b32 s0, v1
	s_bitcmp1_b32 s0, 0
	s_cselect_b64 s[0:1], -1, 0
	s_xor_b64 s[0:1], s[0:1], -1
	s_and_b64 s[4:5], s[0:1], s[4:5]
	s_and_saveexec_b64 s[0:1], s[4:5]
	s_cbranch_execz .LBB19_9
; %bb.8:
	v_mov_b32_e32 v1, 0
	v_mov_b32_e32 v2, 1
	global_store_byte v1, v2, s[2:3] offset:2
.LBB19_9:
	s_or_b64 exec, exec, s[0:1]
	v_mov_b32_e32 v1, 0
	global_load_ubyte v1, v1, s[2:3] offset:3
	s_waitcnt vmcnt(0)
	v_and_b32_e32 v1, 1, v1
	v_cmp_eq_u32_e32 vcc, 1, v1
	s_cbranch_vccnz .LBB19_12
; %bb.10:
	v_and_b32_e32 v0, 0x7fff, v0
	v_add_u16_e32 v0, -1, v0
	s_movk_i32 s0, 0x3ff
	v_cmp_gt_u16_e32 vcc, s0, v0
	s_and_b64 exec, exec, vcc
	s_cbranch_execz .LBB19_12
; %bb.11:
	v_mov_b32_e32 v0, 0
	v_mov_b32_e32 v1, 1
	global_store_byte v0, v1, s[2:3] offset:3
.LBB19_12:
	s_endpgm
	.section	.rodata,"a",@progbits
	.p2align	6, 0x0
	.amdhsa_kernel _ZL36rocblas_check_numerics_vector_kernelILi256EPKPKDF16_EviT0_lllP24rocblas_check_numerics_s
		.amdhsa_group_segment_fixed_size 0
		.amdhsa_private_segment_fixed_size 0
		.amdhsa_kernarg_size 304
		.amdhsa_user_sgpr_count 6
		.amdhsa_user_sgpr_private_segment_buffer 1
		.amdhsa_user_sgpr_dispatch_ptr 0
		.amdhsa_user_sgpr_queue_ptr 0
		.amdhsa_user_sgpr_kernarg_segment_ptr 1
		.amdhsa_user_sgpr_dispatch_id 0
		.amdhsa_user_sgpr_flat_scratch_init 0
		.amdhsa_user_sgpr_private_segment_size 0
		.amdhsa_uses_dynamic_stack 0
		.amdhsa_system_sgpr_private_segment_wavefront_offset 0
		.amdhsa_system_sgpr_workgroup_id_x 1
		.amdhsa_system_sgpr_workgroup_id_y 1
		.amdhsa_system_sgpr_workgroup_id_z 0
		.amdhsa_system_sgpr_workgroup_info 0
		.amdhsa_system_vgpr_workitem_id 0
		.amdhsa_next_free_vgpr 6
		.amdhsa_next_free_sgpr 12
		.amdhsa_reserve_vcc 1
		.amdhsa_reserve_flat_scratch 0
		.amdhsa_float_round_mode_32 0
		.amdhsa_float_round_mode_16_64 0
		.amdhsa_float_denorm_mode_32 3
		.amdhsa_float_denorm_mode_16_64 3
		.amdhsa_dx10_clamp 1
		.amdhsa_ieee_mode 1
		.amdhsa_fp16_overflow 0
		.amdhsa_exception_fp_ieee_invalid_op 0
		.amdhsa_exception_fp_denorm_src 0
		.amdhsa_exception_fp_ieee_div_zero 0
		.amdhsa_exception_fp_ieee_overflow 0
		.amdhsa_exception_fp_ieee_underflow 0
		.amdhsa_exception_fp_ieee_inexact 0
		.amdhsa_exception_int_div_zero 0
	.end_amdhsa_kernel
	.section	.text._ZL36rocblas_check_numerics_vector_kernelILi256EPKPKDF16_EviT0_lllP24rocblas_check_numerics_s,"axG",@progbits,_ZL36rocblas_check_numerics_vector_kernelILi256EPKPKDF16_EviT0_lllP24rocblas_check_numerics_s,comdat
.Lfunc_end19:
	.size	_ZL36rocblas_check_numerics_vector_kernelILi256EPKPKDF16_EviT0_lllP24rocblas_check_numerics_s, .Lfunc_end19-_ZL36rocblas_check_numerics_vector_kernelILi256EPKPKDF16_EviT0_lllP24rocblas_check_numerics_s
                                        ; -- End function
	.set _ZL36rocblas_check_numerics_vector_kernelILi256EPKPKDF16_EviT0_lllP24rocblas_check_numerics_s.num_vgpr, 6
	.set _ZL36rocblas_check_numerics_vector_kernelILi256EPKPKDF16_EviT0_lllP24rocblas_check_numerics_s.num_agpr, 0
	.set _ZL36rocblas_check_numerics_vector_kernelILi256EPKPKDF16_EviT0_lllP24rocblas_check_numerics_s.numbered_sgpr, 12
	.set _ZL36rocblas_check_numerics_vector_kernelILi256EPKPKDF16_EviT0_lllP24rocblas_check_numerics_s.num_named_barrier, 0
	.set _ZL36rocblas_check_numerics_vector_kernelILi256EPKPKDF16_EviT0_lllP24rocblas_check_numerics_s.private_seg_size, 0
	.set _ZL36rocblas_check_numerics_vector_kernelILi256EPKPKDF16_EviT0_lllP24rocblas_check_numerics_s.uses_vcc, 1
	.set _ZL36rocblas_check_numerics_vector_kernelILi256EPKPKDF16_EviT0_lllP24rocblas_check_numerics_s.uses_flat_scratch, 0
	.set _ZL36rocblas_check_numerics_vector_kernelILi256EPKPKDF16_EviT0_lllP24rocblas_check_numerics_s.has_dyn_sized_stack, 0
	.set _ZL36rocblas_check_numerics_vector_kernelILi256EPKPKDF16_EviT0_lllP24rocblas_check_numerics_s.has_recursion, 0
	.set _ZL36rocblas_check_numerics_vector_kernelILi256EPKPKDF16_EviT0_lllP24rocblas_check_numerics_s.has_indirect_call, 0
	.section	.AMDGPU.csdata,"",@progbits
; Kernel info:
; codeLenInByte = 484
; TotalNumSgprs: 16
; NumVgprs: 6
; ScratchSize: 0
; MemoryBound: 0
; FloatMode: 240
; IeeeMode: 1
; LDSByteSize: 0 bytes/workgroup (compile time only)
; SGPRBlocks: 1
; VGPRBlocks: 1
; NumSGPRsForWavesPerEU: 16
; NumVGPRsForWavesPerEU: 6
; Occupancy: 10
; WaveLimiterHint : 1
; COMPUTE_PGM_RSRC2:SCRATCH_EN: 0
; COMPUTE_PGM_RSRC2:USER_SGPR: 6
; COMPUTE_PGM_RSRC2:TRAP_HANDLER: 0
; COMPUTE_PGM_RSRC2:TGID_X_EN: 1
; COMPUTE_PGM_RSRC2:TGID_Y_EN: 1
; COMPUTE_PGM_RSRC2:TGID_Z_EN: 0
; COMPUTE_PGM_RSRC2:TIDIG_COMP_CNT: 0
	.section	.text._ZL36rocblas_check_numerics_vector_kernelILi256EP16rocblas_bfloat16EviT0_lllP24rocblas_check_numerics_s,"axG",@progbits,_ZL36rocblas_check_numerics_vector_kernelILi256EP16rocblas_bfloat16EviT0_lllP24rocblas_check_numerics_s,comdat
	.globl	_ZL36rocblas_check_numerics_vector_kernelILi256EP16rocblas_bfloat16EviT0_lllP24rocblas_check_numerics_s ; -- Begin function _ZL36rocblas_check_numerics_vector_kernelILi256EP16rocblas_bfloat16EviT0_lllP24rocblas_check_numerics_s
	.p2align	8
	.type	_ZL36rocblas_check_numerics_vector_kernelILi256EP16rocblas_bfloat16EviT0_lllP24rocblas_check_numerics_s,@function
_ZL36rocblas_check_numerics_vector_kernelILi256EP16rocblas_bfloat16EviT0_lllP24rocblas_check_numerics_s: ; @_ZL36rocblas_check_numerics_vector_kernelILi256EP16rocblas_bfloat16EviT0_lllP24rocblas_check_numerics_s
; %bb.0:
	s_load_dword s0, s[4:5], 0x0
	s_load_dword s2, s[4:5], 0x3c
	v_mov_b32_e32 v1, 0
	s_waitcnt lgkmcnt(0)
	s_ashr_i32 s1, s0, 31
	s_and_b32 s2, s2, 0xffff
	s_mul_i32 s6, s6, s2
	v_add_u32_e32 v0, s6, v0
	v_cmp_gt_i64_e32 vcc, s[0:1], v[0:1]
	s_and_saveexec_b64 s[0:1], vcc
	s_cbranch_execz .LBB20_11
; %bb.1:
	s_load_dwordx8 s[8:15], s[4:5], 0x8
	s_load_dwordx2 s[2:3], s[4:5], 0x28
	s_waitcnt lgkmcnt(0)
	s_mul_i32 s1, s15, s7
	s_mul_hi_u32 s4, s14, s7
	s_add_i32 s1, s4, s1
	v_mad_u64_u32 v[2:3], s[4:5], s12, v0, 0
	s_mul_i32 s0, s14, s7
	s_lshl_b64 s[0:1], s[0:1], 1
	s_add_u32 s4, s8, s0
	s_addc_u32 s5, s9, s1
	v_mad_u64_u32 v[3:4], s[0:1], s13, v0, v[3:4]
	s_lshl_b64 s[0:1], s[10:11], 1
	s_add_u32 s0, s4, s0
	v_lshlrev_b64 v[2:3], 1, v[2:3]
	s_addc_u32 s1, s5, s1
	v_mov_b32_e32 v4, s1
	global_load_ubyte v5, v1, s[2:3] offset:1
	v_add_co_u32_e32 v0, vcc, s0, v2
	v_addc_co_u32_e32 v1, vcc, v4, v3, vcc
	global_load_ushort v1, v[0:1], off
	s_waitcnt vmcnt(1)
	v_readfirstlane_b32 s0, v5
	s_bitcmp1_b32 s0, 0
	s_cselect_b64 s[0:1], -1, 0
	s_xor_b64 s[0:1], s[0:1], -1
	s_waitcnt vmcnt(0)
	v_and_b32_e32 v0, 0x7fff, v1
	v_cmp_eq_u16_e32 vcc, 0, v0
	s_and_b64 s[4:5], s[0:1], vcc
	s_and_saveexec_b64 s[0:1], s[4:5]
	s_cbranch_execz .LBB20_3
; %bb.2:
	v_mov_b32_e32 v2, 0
	v_mov_b32_e32 v3, 1
	global_store_byte v2, v3, s[2:3] offset:1
.LBB20_3:
	s_or_b64 exec, exec, s[0:1]
	v_mov_b32_e32 v2, 0
	global_load_ubyte v3, v2, s[2:3]
	s_waitcnt vmcnt(0)
	v_and_b32_e32 v3, 1, v3
	v_cmp_eq_u32_e32 vcc, 1, v3
	s_cbranch_vccnz .LBB20_7
; %bb.4:
	s_movk_i32 s0, 0x7f80
	v_and_b32_sdwa v3, v1, s0 dst_sel:DWORD dst_unused:UNUSED_PAD src0_sel:WORD_0 src1_sel:DWORD
	v_cmp_eq_u32_e32 vcc, s0, v3
	s_movk_i32 s0, 0x7f
	v_and_b32_sdwa v1, v1, s0 dst_sel:DWORD dst_unused:UNUSED_PAD src0_sel:WORD_0 src1_sel:DWORD
	v_cmp_ne_u32_e64 s[0:1], 0, v1
	s_and_b64 s[4:5], vcc, s[0:1]
	s_and_saveexec_b64 s[0:1], s[4:5]
	s_cbranch_execz .LBB20_6
; %bb.5:
	v_mov_b32_e32 v1, 0
	v_mov_b32_e32 v3, 1
	global_store_byte v1, v3, s[2:3]
.LBB20_6:
	s_or_b64 exec, exec, s[0:1]
.LBB20_7:
	global_load_ubyte v1, v2, s[2:3] offset:2
	s_movk_i32 s4, 0x7f80
	v_cmp_eq_u16_e32 vcc, s4, v0
	s_waitcnt vmcnt(0)
	v_readfirstlane_b32 s0, v1
	s_bitcmp1_b32 s0, 0
	s_cselect_b64 s[0:1], -1, 0
	s_xor_b64 s[0:1], s[0:1], -1
	s_and_b64 s[4:5], s[0:1], vcc
	s_and_saveexec_b64 s[0:1], s[4:5]
	s_cbranch_execz .LBB20_9
; %bb.8:
	v_mov_b32_e32 v1, 0
	v_mov_b32_e32 v2, 1
	global_store_byte v1, v2, s[2:3] offset:2
.LBB20_9:
	s_or_b64 exec, exec, s[0:1]
	v_mov_b32_e32 v1, 0
	global_load_ubyte v2, v1, s[2:3] offset:3
	s_movk_i32 s4, 0xff80
	v_add_u16_e32 v0, 0xff80, v0
	v_cmp_lt_u16_e32 vcc, s4, v0
	s_waitcnt vmcnt(0)
	v_readfirstlane_b32 s0, v2
	s_bitcmp1_b32 s0, 0
	s_cselect_b64 s[0:1], -1, 0
	s_xor_b64 s[0:1], s[0:1], -1
	s_and_b64 s[0:1], s[0:1], vcc
	s_and_b64 exec, exec, s[0:1]
	s_cbranch_execz .LBB20_11
; %bb.10:
	v_mov_b32_e32 v0, 1
	global_store_byte v1, v0, s[2:3] offset:3
.LBB20_11:
	s_endpgm
	.section	.rodata,"a",@progbits
	.p2align	6, 0x0
	.amdhsa_kernel _ZL36rocblas_check_numerics_vector_kernelILi256EP16rocblas_bfloat16EviT0_lllP24rocblas_check_numerics_s
		.amdhsa_group_segment_fixed_size 0
		.amdhsa_private_segment_fixed_size 0
		.amdhsa_kernarg_size 304
		.amdhsa_user_sgpr_count 6
		.amdhsa_user_sgpr_private_segment_buffer 1
		.amdhsa_user_sgpr_dispatch_ptr 0
		.amdhsa_user_sgpr_queue_ptr 0
		.amdhsa_user_sgpr_kernarg_segment_ptr 1
		.amdhsa_user_sgpr_dispatch_id 0
		.amdhsa_user_sgpr_flat_scratch_init 0
		.amdhsa_user_sgpr_private_segment_size 0
		.amdhsa_uses_dynamic_stack 0
		.amdhsa_system_sgpr_private_segment_wavefront_offset 0
		.amdhsa_system_sgpr_workgroup_id_x 1
		.amdhsa_system_sgpr_workgroup_id_y 1
		.amdhsa_system_sgpr_workgroup_id_z 0
		.amdhsa_system_sgpr_workgroup_info 0
		.amdhsa_system_vgpr_workitem_id 0
		.amdhsa_next_free_vgpr 6
		.amdhsa_next_free_sgpr 16
		.amdhsa_reserve_vcc 1
		.amdhsa_reserve_flat_scratch 0
		.amdhsa_float_round_mode_32 0
		.amdhsa_float_round_mode_16_64 0
		.amdhsa_float_denorm_mode_32 3
		.amdhsa_float_denorm_mode_16_64 3
		.amdhsa_dx10_clamp 1
		.amdhsa_ieee_mode 1
		.amdhsa_fp16_overflow 0
		.amdhsa_exception_fp_ieee_invalid_op 0
		.amdhsa_exception_fp_denorm_src 0
		.amdhsa_exception_fp_ieee_div_zero 0
		.amdhsa_exception_fp_ieee_overflow 0
		.amdhsa_exception_fp_ieee_underflow 0
		.amdhsa_exception_fp_ieee_inexact 0
		.amdhsa_exception_int_div_zero 0
	.end_amdhsa_kernel
	.section	.text._ZL36rocblas_check_numerics_vector_kernelILi256EP16rocblas_bfloat16EviT0_lllP24rocblas_check_numerics_s,"axG",@progbits,_ZL36rocblas_check_numerics_vector_kernelILi256EP16rocblas_bfloat16EviT0_lllP24rocblas_check_numerics_s,comdat
.Lfunc_end20:
	.size	_ZL36rocblas_check_numerics_vector_kernelILi256EP16rocblas_bfloat16EviT0_lllP24rocblas_check_numerics_s, .Lfunc_end20-_ZL36rocblas_check_numerics_vector_kernelILi256EP16rocblas_bfloat16EviT0_lllP24rocblas_check_numerics_s
                                        ; -- End function
	.set _ZL36rocblas_check_numerics_vector_kernelILi256EP16rocblas_bfloat16EviT0_lllP24rocblas_check_numerics_s.num_vgpr, 6
	.set _ZL36rocblas_check_numerics_vector_kernelILi256EP16rocblas_bfloat16EviT0_lllP24rocblas_check_numerics_s.num_agpr, 0
	.set _ZL36rocblas_check_numerics_vector_kernelILi256EP16rocblas_bfloat16EviT0_lllP24rocblas_check_numerics_s.numbered_sgpr, 16
	.set _ZL36rocblas_check_numerics_vector_kernelILi256EP16rocblas_bfloat16EviT0_lllP24rocblas_check_numerics_s.num_named_barrier, 0
	.set _ZL36rocblas_check_numerics_vector_kernelILi256EP16rocblas_bfloat16EviT0_lllP24rocblas_check_numerics_s.private_seg_size, 0
	.set _ZL36rocblas_check_numerics_vector_kernelILi256EP16rocblas_bfloat16EviT0_lllP24rocblas_check_numerics_s.uses_vcc, 1
	.set _ZL36rocblas_check_numerics_vector_kernelILi256EP16rocblas_bfloat16EviT0_lllP24rocblas_check_numerics_s.uses_flat_scratch, 0
	.set _ZL36rocblas_check_numerics_vector_kernelILi256EP16rocblas_bfloat16EviT0_lllP24rocblas_check_numerics_s.has_dyn_sized_stack, 0
	.set _ZL36rocblas_check_numerics_vector_kernelILi256EP16rocblas_bfloat16EviT0_lllP24rocblas_check_numerics_s.has_recursion, 0
	.set _ZL36rocblas_check_numerics_vector_kernelILi256EP16rocblas_bfloat16EviT0_lllP24rocblas_check_numerics_s.has_indirect_call, 0
	.section	.AMDGPU.csdata,"",@progbits
; Kernel info:
; codeLenInByte = 476
; TotalNumSgprs: 20
; NumVgprs: 6
; ScratchSize: 0
; MemoryBound: 0
; FloatMode: 240
; IeeeMode: 1
; LDSByteSize: 0 bytes/workgroup (compile time only)
; SGPRBlocks: 2
; VGPRBlocks: 1
; NumSGPRsForWavesPerEU: 20
; NumVGPRsForWavesPerEU: 6
; Occupancy: 10
; WaveLimiterHint : 0
; COMPUTE_PGM_RSRC2:SCRATCH_EN: 0
; COMPUTE_PGM_RSRC2:USER_SGPR: 6
; COMPUTE_PGM_RSRC2:TRAP_HANDLER: 0
; COMPUTE_PGM_RSRC2:TGID_X_EN: 1
; COMPUTE_PGM_RSRC2:TGID_Y_EN: 1
; COMPUTE_PGM_RSRC2:TGID_Z_EN: 0
; COMPUTE_PGM_RSRC2:TIDIG_COMP_CNT: 0
	.section	.text._ZL36rocblas_check_numerics_vector_kernelILi256EPKP16rocblas_bfloat16EviT0_lllP24rocblas_check_numerics_s,"axG",@progbits,_ZL36rocblas_check_numerics_vector_kernelILi256EPKP16rocblas_bfloat16EviT0_lllP24rocblas_check_numerics_s,comdat
	.globl	_ZL36rocblas_check_numerics_vector_kernelILi256EPKP16rocblas_bfloat16EviT0_lllP24rocblas_check_numerics_s ; -- Begin function _ZL36rocblas_check_numerics_vector_kernelILi256EPKP16rocblas_bfloat16EviT0_lllP24rocblas_check_numerics_s
	.p2align	8
	.type	_ZL36rocblas_check_numerics_vector_kernelILi256EPKP16rocblas_bfloat16EviT0_lllP24rocblas_check_numerics_s,@function
_ZL36rocblas_check_numerics_vector_kernelILi256EPKP16rocblas_bfloat16EviT0_lllP24rocblas_check_numerics_s: ; @_ZL36rocblas_check_numerics_vector_kernelILi256EPKP16rocblas_bfloat16EviT0_lllP24rocblas_check_numerics_s
; %bb.0:
	s_load_dword s2, s[4:5], 0x0
	s_load_dword s1, s[4:5], 0x3c
	v_mov_b32_e32 v1, 0
	s_waitcnt lgkmcnt(0)
	s_ashr_i32 s3, s2, 31
	s_and_b32 s1, s1, 0xffff
	s_mul_i32 s6, s6, s1
	v_add_u32_e32 v0, s6, v0
	v_cmp_gt_i64_e32 vcc, s[2:3], v[0:1]
	s_and_saveexec_b64 s[2:3], vcc
	s_cbranch_execz .LBB21_11
; %bb.1:
	s_mov_b32 s0, s7
	s_load_dwordx4 s[8:11], s[4:5], 0x8
	s_load_dwordx2 s[6:7], s[4:5], 0x18
	s_load_dwordx2 s[2:3], s[4:5], 0x28
	s_mov_b32 s1, 0
	s_lshl_b64 s[0:1], s[0:1], 3
	s_waitcnt lgkmcnt(0)
	s_add_u32 s0, s8, s0
	v_mad_u64_u32 v[2:3], s[4:5], s6, v0, 0
	s_addc_u32 s1, s9, s1
	s_load_dwordx2 s[0:1], s[0:1], 0x0
	v_mad_u64_u32 v[3:4], s[4:5], s7, v0, v[3:4]
	s_lshl_b64 s[4:5], s[10:11], 1
	global_load_ubyte v5, v1, s[2:3] offset:1
	s_waitcnt lgkmcnt(0)
	s_add_u32 s0, s0, s4
	v_lshlrev_b64 v[2:3], 1, v[2:3]
	s_addc_u32 s1, s1, s5
	v_mov_b32_e32 v4, s1
	v_add_co_u32_e32 v0, vcc, s0, v2
	v_addc_co_u32_e32 v1, vcc, v4, v3, vcc
	flat_load_ushort v1, v[0:1]
	s_waitcnt vmcnt(0)
	v_readfirstlane_b32 s0, v5
	s_bitcmp1_b32 s0, 0
	s_cselect_b64 s[0:1], -1, 0
	s_xor_b64 s[0:1], s[0:1], -1
	s_waitcnt lgkmcnt(0)
	v_and_b32_e32 v0, 0x7fff, v1
	v_cmp_eq_u16_e32 vcc, 0, v0
	s_and_b64 s[4:5], s[0:1], vcc
	s_and_saveexec_b64 s[0:1], s[4:5]
	s_cbranch_execz .LBB21_3
; %bb.2:
	v_mov_b32_e32 v2, 0
	v_mov_b32_e32 v3, 1
	global_store_byte v2, v3, s[2:3] offset:1
.LBB21_3:
	s_or_b64 exec, exec, s[0:1]
	v_mov_b32_e32 v2, 0
	global_load_ubyte v3, v2, s[2:3]
	s_waitcnt vmcnt(0)
	v_and_b32_e32 v3, 1, v3
	v_cmp_eq_u32_e32 vcc, 1, v3
	s_cbranch_vccnz .LBB21_7
; %bb.4:
	s_movk_i32 s0, 0x7f80
	v_and_b32_sdwa v3, v1, s0 dst_sel:DWORD dst_unused:UNUSED_PAD src0_sel:WORD_0 src1_sel:DWORD
	v_cmp_eq_u32_e32 vcc, s0, v3
	s_movk_i32 s0, 0x7f
	v_and_b32_sdwa v1, v1, s0 dst_sel:DWORD dst_unused:UNUSED_PAD src0_sel:WORD_0 src1_sel:DWORD
	v_cmp_ne_u32_e64 s[0:1], 0, v1
	s_and_b64 s[4:5], vcc, s[0:1]
	s_and_saveexec_b64 s[0:1], s[4:5]
	s_cbranch_execz .LBB21_6
; %bb.5:
	v_mov_b32_e32 v1, 0
	v_mov_b32_e32 v3, 1
	global_store_byte v1, v3, s[2:3]
.LBB21_6:
	s_or_b64 exec, exec, s[0:1]
.LBB21_7:
	global_load_ubyte v1, v2, s[2:3] offset:2
	s_movk_i32 s4, 0x7f80
	v_cmp_eq_u16_e32 vcc, s4, v0
	s_waitcnt vmcnt(0)
	v_readfirstlane_b32 s0, v1
	s_bitcmp1_b32 s0, 0
	s_cselect_b64 s[0:1], -1, 0
	s_xor_b64 s[0:1], s[0:1], -1
	s_and_b64 s[4:5], s[0:1], vcc
	s_and_saveexec_b64 s[0:1], s[4:5]
	s_cbranch_execz .LBB21_9
; %bb.8:
	v_mov_b32_e32 v1, 0
	v_mov_b32_e32 v2, 1
	global_store_byte v1, v2, s[2:3] offset:2
.LBB21_9:
	s_or_b64 exec, exec, s[0:1]
	v_mov_b32_e32 v1, 0
	global_load_ubyte v2, v1, s[2:3] offset:3
	s_movk_i32 s4, 0xff80
	v_add_u16_e32 v0, 0xff80, v0
	v_cmp_lt_u16_e32 vcc, s4, v0
	s_waitcnt vmcnt(0)
	v_readfirstlane_b32 s0, v2
	s_bitcmp1_b32 s0, 0
	s_cselect_b64 s[0:1], -1, 0
	s_xor_b64 s[0:1], s[0:1], -1
	s_and_b64 s[0:1], s[0:1], vcc
	s_and_b64 exec, exec, s[0:1]
	s_cbranch_execz .LBB21_11
; %bb.10:
	v_mov_b32_e32 v0, 1
	global_store_byte v1, v0, s[2:3] offset:3
.LBB21_11:
	s_endpgm
	.section	.rodata,"a",@progbits
	.p2align	6, 0x0
	.amdhsa_kernel _ZL36rocblas_check_numerics_vector_kernelILi256EPKP16rocblas_bfloat16EviT0_lllP24rocblas_check_numerics_s
		.amdhsa_group_segment_fixed_size 0
		.amdhsa_private_segment_fixed_size 0
		.amdhsa_kernarg_size 304
		.amdhsa_user_sgpr_count 6
		.amdhsa_user_sgpr_private_segment_buffer 1
		.amdhsa_user_sgpr_dispatch_ptr 0
		.amdhsa_user_sgpr_queue_ptr 0
		.amdhsa_user_sgpr_kernarg_segment_ptr 1
		.amdhsa_user_sgpr_dispatch_id 0
		.amdhsa_user_sgpr_flat_scratch_init 0
		.amdhsa_user_sgpr_private_segment_size 0
		.amdhsa_uses_dynamic_stack 0
		.amdhsa_system_sgpr_private_segment_wavefront_offset 0
		.amdhsa_system_sgpr_workgroup_id_x 1
		.amdhsa_system_sgpr_workgroup_id_y 1
		.amdhsa_system_sgpr_workgroup_id_z 0
		.amdhsa_system_sgpr_workgroup_info 0
		.amdhsa_system_vgpr_workitem_id 0
		.amdhsa_next_free_vgpr 6
		.amdhsa_next_free_sgpr 12
		.amdhsa_reserve_vcc 1
		.amdhsa_reserve_flat_scratch 0
		.amdhsa_float_round_mode_32 0
		.amdhsa_float_round_mode_16_64 0
		.amdhsa_float_denorm_mode_32 3
		.amdhsa_float_denorm_mode_16_64 3
		.amdhsa_dx10_clamp 1
		.amdhsa_ieee_mode 1
		.amdhsa_fp16_overflow 0
		.amdhsa_exception_fp_ieee_invalid_op 0
		.amdhsa_exception_fp_denorm_src 0
		.amdhsa_exception_fp_ieee_div_zero 0
		.amdhsa_exception_fp_ieee_overflow 0
		.amdhsa_exception_fp_ieee_underflow 0
		.amdhsa_exception_fp_ieee_inexact 0
		.amdhsa_exception_int_div_zero 0
	.end_amdhsa_kernel
	.section	.text._ZL36rocblas_check_numerics_vector_kernelILi256EPKP16rocblas_bfloat16EviT0_lllP24rocblas_check_numerics_s,"axG",@progbits,_ZL36rocblas_check_numerics_vector_kernelILi256EPKP16rocblas_bfloat16EviT0_lllP24rocblas_check_numerics_s,comdat
.Lfunc_end21:
	.size	_ZL36rocblas_check_numerics_vector_kernelILi256EPKP16rocblas_bfloat16EviT0_lllP24rocblas_check_numerics_s, .Lfunc_end21-_ZL36rocblas_check_numerics_vector_kernelILi256EPKP16rocblas_bfloat16EviT0_lllP24rocblas_check_numerics_s
                                        ; -- End function
	.set _ZL36rocblas_check_numerics_vector_kernelILi256EPKP16rocblas_bfloat16EviT0_lllP24rocblas_check_numerics_s.num_vgpr, 6
	.set _ZL36rocblas_check_numerics_vector_kernelILi256EPKP16rocblas_bfloat16EviT0_lllP24rocblas_check_numerics_s.num_agpr, 0
	.set _ZL36rocblas_check_numerics_vector_kernelILi256EPKP16rocblas_bfloat16EviT0_lllP24rocblas_check_numerics_s.numbered_sgpr, 12
	.set _ZL36rocblas_check_numerics_vector_kernelILi256EPKP16rocblas_bfloat16EviT0_lllP24rocblas_check_numerics_s.num_named_barrier, 0
	.set _ZL36rocblas_check_numerics_vector_kernelILi256EPKP16rocblas_bfloat16EviT0_lllP24rocblas_check_numerics_s.private_seg_size, 0
	.set _ZL36rocblas_check_numerics_vector_kernelILi256EPKP16rocblas_bfloat16EviT0_lllP24rocblas_check_numerics_s.uses_vcc, 1
	.set _ZL36rocblas_check_numerics_vector_kernelILi256EPKP16rocblas_bfloat16EviT0_lllP24rocblas_check_numerics_s.uses_flat_scratch, 0
	.set _ZL36rocblas_check_numerics_vector_kernelILi256EPKP16rocblas_bfloat16EviT0_lllP24rocblas_check_numerics_s.has_dyn_sized_stack, 0
	.set _ZL36rocblas_check_numerics_vector_kernelILi256EPKP16rocblas_bfloat16EviT0_lllP24rocblas_check_numerics_s.has_recursion, 0
	.set _ZL36rocblas_check_numerics_vector_kernelILi256EPKP16rocblas_bfloat16EviT0_lllP24rocblas_check_numerics_s.has_indirect_call, 0
	.section	.AMDGPU.csdata,"",@progbits
; Kernel info:
; codeLenInByte = 488
; TotalNumSgprs: 16
; NumVgprs: 6
; ScratchSize: 0
; MemoryBound: 0
; FloatMode: 240
; IeeeMode: 1
; LDSByteSize: 0 bytes/workgroup (compile time only)
; SGPRBlocks: 1
; VGPRBlocks: 1
; NumSGPRsForWavesPerEU: 16
; NumVGPRsForWavesPerEU: 6
; Occupancy: 10
; WaveLimiterHint : 1
; COMPUTE_PGM_RSRC2:SCRATCH_EN: 0
; COMPUTE_PGM_RSRC2:USER_SGPR: 6
; COMPUTE_PGM_RSRC2:TRAP_HANDLER: 0
; COMPUTE_PGM_RSRC2:TGID_X_EN: 1
; COMPUTE_PGM_RSRC2:TGID_Y_EN: 1
; COMPUTE_PGM_RSRC2:TGID_Z_EN: 0
; COMPUTE_PGM_RSRC2:TIDIG_COMP_CNT: 0
	.section	.text._ZL36rocblas_check_numerics_vector_kernelILi256EPK16rocblas_bfloat16EviT0_lllP24rocblas_check_numerics_s,"axG",@progbits,_ZL36rocblas_check_numerics_vector_kernelILi256EPK16rocblas_bfloat16EviT0_lllP24rocblas_check_numerics_s,comdat
	.globl	_ZL36rocblas_check_numerics_vector_kernelILi256EPK16rocblas_bfloat16EviT0_lllP24rocblas_check_numerics_s ; -- Begin function _ZL36rocblas_check_numerics_vector_kernelILi256EPK16rocblas_bfloat16EviT0_lllP24rocblas_check_numerics_s
	.p2align	8
	.type	_ZL36rocblas_check_numerics_vector_kernelILi256EPK16rocblas_bfloat16EviT0_lllP24rocblas_check_numerics_s,@function
_ZL36rocblas_check_numerics_vector_kernelILi256EPK16rocblas_bfloat16EviT0_lllP24rocblas_check_numerics_s: ; @_ZL36rocblas_check_numerics_vector_kernelILi256EPK16rocblas_bfloat16EviT0_lllP24rocblas_check_numerics_s
; %bb.0:
	s_load_dword s0, s[4:5], 0x0
	s_load_dword s2, s[4:5], 0x3c
	v_mov_b32_e32 v1, 0
	s_waitcnt lgkmcnt(0)
	s_ashr_i32 s1, s0, 31
	s_and_b32 s2, s2, 0xffff
	s_mul_i32 s6, s6, s2
	v_add_u32_e32 v0, s6, v0
	v_cmp_gt_i64_e32 vcc, s[0:1], v[0:1]
	s_and_saveexec_b64 s[0:1], vcc
	s_cbranch_execz .LBB22_11
; %bb.1:
	s_load_dwordx8 s[8:15], s[4:5], 0x8
	s_load_dwordx2 s[2:3], s[4:5], 0x28
	s_waitcnt lgkmcnt(0)
	s_mul_i32 s1, s15, s7
	s_mul_hi_u32 s4, s14, s7
	s_add_i32 s1, s4, s1
	v_mad_u64_u32 v[2:3], s[4:5], s12, v0, 0
	s_mul_i32 s0, s14, s7
	s_lshl_b64 s[0:1], s[0:1], 1
	s_add_u32 s4, s8, s0
	s_addc_u32 s5, s9, s1
	v_mad_u64_u32 v[3:4], s[0:1], s13, v0, v[3:4]
	s_lshl_b64 s[0:1], s[10:11], 1
	s_add_u32 s0, s4, s0
	v_lshlrev_b64 v[2:3], 1, v[2:3]
	s_addc_u32 s1, s5, s1
	v_mov_b32_e32 v4, s1
	global_load_ubyte v5, v1, s[2:3] offset:1
	v_add_co_u32_e32 v0, vcc, s0, v2
	v_addc_co_u32_e32 v1, vcc, v4, v3, vcc
	global_load_ushort v1, v[0:1], off
	s_waitcnt vmcnt(1)
	v_readfirstlane_b32 s0, v5
	s_bitcmp1_b32 s0, 0
	s_cselect_b64 s[0:1], -1, 0
	s_xor_b64 s[0:1], s[0:1], -1
	s_waitcnt vmcnt(0)
	v_and_b32_e32 v0, 0x7fff, v1
	v_cmp_eq_u16_e32 vcc, 0, v0
	s_and_b64 s[4:5], s[0:1], vcc
	s_and_saveexec_b64 s[0:1], s[4:5]
	s_cbranch_execz .LBB22_3
; %bb.2:
	v_mov_b32_e32 v2, 0
	v_mov_b32_e32 v3, 1
	global_store_byte v2, v3, s[2:3] offset:1
.LBB22_3:
	s_or_b64 exec, exec, s[0:1]
	v_mov_b32_e32 v2, 0
	global_load_ubyte v3, v2, s[2:3]
	s_waitcnt vmcnt(0)
	v_and_b32_e32 v3, 1, v3
	v_cmp_eq_u32_e32 vcc, 1, v3
	s_cbranch_vccnz .LBB22_7
; %bb.4:
	s_movk_i32 s0, 0x7f80
	v_and_b32_sdwa v3, v1, s0 dst_sel:DWORD dst_unused:UNUSED_PAD src0_sel:WORD_0 src1_sel:DWORD
	v_cmp_eq_u32_e32 vcc, s0, v3
	s_movk_i32 s0, 0x7f
	v_and_b32_sdwa v1, v1, s0 dst_sel:DWORD dst_unused:UNUSED_PAD src0_sel:WORD_0 src1_sel:DWORD
	v_cmp_ne_u32_e64 s[0:1], 0, v1
	s_and_b64 s[4:5], vcc, s[0:1]
	s_and_saveexec_b64 s[0:1], s[4:5]
	s_cbranch_execz .LBB22_6
; %bb.5:
	v_mov_b32_e32 v1, 0
	v_mov_b32_e32 v3, 1
	global_store_byte v1, v3, s[2:3]
.LBB22_6:
	s_or_b64 exec, exec, s[0:1]
.LBB22_7:
	global_load_ubyte v1, v2, s[2:3] offset:2
	s_movk_i32 s4, 0x7f80
	v_cmp_eq_u16_e32 vcc, s4, v0
	s_waitcnt vmcnt(0)
	v_readfirstlane_b32 s0, v1
	s_bitcmp1_b32 s0, 0
	s_cselect_b64 s[0:1], -1, 0
	s_xor_b64 s[0:1], s[0:1], -1
	s_and_b64 s[4:5], s[0:1], vcc
	s_and_saveexec_b64 s[0:1], s[4:5]
	s_cbranch_execz .LBB22_9
; %bb.8:
	v_mov_b32_e32 v1, 0
	v_mov_b32_e32 v2, 1
	global_store_byte v1, v2, s[2:3] offset:2
.LBB22_9:
	s_or_b64 exec, exec, s[0:1]
	v_mov_b32_e32 v1, 0
	global_load_ubyte v2, v1, s[2:3] offset:3
	s_movk_i32 s4, 0xff80
	v_add_u16_e32 v0, 0xff80, v0
	v_cmp_lt_u16_e32 vcc, s4, v0
	s_waitcnt vmcnt(0)
	v_readfirstlane_b32 s0, v2
	s_bitcmp1_b32 s0, 0
	s_cselect_b64 s[0:1], -1, 0
	s_xor_b64 s[0:1], s[0:1], -1
	s_and_b64 s[0:1], s[0:1], vcc
	s_and_b64 exec, exec, s[0:1]
	s_cbranch_execz .LBB22_11
; %bb.10:
	v_mov_b32_e32 v0, 1
	global_store_byte v1, v0, s[2:3] offset:3
.LBB22_11:
	s_endpgm
	.section	.rodata,"a",@progbits
	.p2align	6, 0x0
	.amdhsa_kernel _ZL36rocblas_check_numerics_vector_kernelILi256EPK16rocblas_bfloat16EviT0_lllP24rocblas_check_numerics_s
		.amdhsa_group_segment_fixed_size 0
		.amdhsa_private_segment_fixed_size 0
		.amdhsa_kernarg_size 304
		.amdhsa_user_sgpr_count 6
		.amdhsa_user_sgpr_private_segment_buffer 1
		.amdhsa_user_sgpr_dispatch_ptr 0
		.amdhsa_user_sgpr_queue_ptr 0
		.amdhsa_user_sgpr_kernarg_segment_ptr 1
		.amdhsa_user_sgpr_dispatch_id 0
		.amdhsa_user_sgpr_flat_scratch_init 0
		.amdhsa_user_sgpr_private_segment_size 0
		.amdhsa_uses_dynamic_stack 0
		.amdhsa_system_sgpr_private_segment_wavefront_offset 0
		.amdhsa_system_sgpr_workgroup_id_x 1
		.amdhsa_system_sgpr_workgroup_id_y 1
		.amdhsa_system_sgpr_workgroup_id_z 0
		.amdhsa_system_sgpr_workgroup_info 0
		.amdhsa_system_vgpr_workitem_id 0
		.amdhsa_next_free_vgpr 6
		.amdhsa_next_free_sgpr 16
		.amdhsa_reserve_vcc 1
		.amdhsa_reserve_flat_scratch 0
		.amdhsa_float_round_mode_32 0
		.amdhsa_float_round_mode_16_64 0
		.amdhsa_float_denorm_mode_32 3
		.amdhsa_float_denorm_mode_16_64 3
		.amdhsa_dx10_clamp 1
		.amdhsa_ieee_mode 1
		.amdhsa_fp16_overflow 0
		.amdhsa_exception_fp_ieee_invalid_op 0
		.amdhsa_exception_fp_denorm_src 0
		.amdhsa_exception_fp_ieee_div_zero 0
		.amdhsa_exception_fp_ieee_overflow 0
		.amdhsa_exception_fp_ieee_underflow 0
		.amdhsa_exception_fp_ieee_inexact 0
		.amdhsa_exception_int_div_zero 0
	.end_amdhsa_kernel
	.section	.text._ZL36rocblas_check_numerics_vector_kernelILi256EPK16rocblas_bfloat16EviT0_lllP24rocblas_check_numerics_s,"axG",@progbits,_ZL36rocblas_check_numerics_vector_kernelILi256EPK16rocblas_bfloat16EviT0_lllP24rocblas_check_numerics_s,comdat
.Lfunc_end22:
	.size	_ZL36rocblas_check_numerics_vector_kernelILi256EPK16rocblas_bfloat16EviT0_lllP24rocblas_check_numerics_s, .Lfunc_end22-_ZL36rocblas_check_numerics_vector_kernelILi256EPK16rocblas_bfloat16EviT0_lllP24rocblas_check_numerics_s
                                        ; -- End function
	.set _ZL36rocblas_check_numerics_vector_kernelILi256EPK16rocblas_bfloat16EviT0_lllP24rocblas_check_numerics_s.num_vgpr, 6
	.set _ZL36rocblas_check_numerics_vector_kernelILi256EPK16rocblas_bfloat16EviT0_lllP24rocblas_check_numerics_s.num_agpr, 0
	.set _ZL36rocblas_check_numerics_vector_kernelILi256EPK16rocblas_bfloat16EviT0_lllP24rocblas_check_numerics_s.numbered_sgpr, 16
	.set _ZL36rocblas_check_numerics_vector_kernelILi256EPK16rocblas_bfloat16EviT0_lllP24rocblas_check_numerics_s.num_named_barrier, 0
	.set _ZL36rocblas_check_numerics_vector_kernelILi256EPK16rocblas_bfloat16EviT0_lllP24rocblas_check_numerics_s.private_seg_size, 0
	.set _ZL36rocblas_check_numerics_vector_kernelILi256EPK16rocblas_bfloat16EviT0_lllP24rocblas_check_numerics_s.uses_vcc, 1
	.set _ZL36rocblas_check_numerics_vector_kernelILi256EPK16rocblas_bfloat16EviT0_lllP24rocblas_check_numerics_s.uses_flat_scratch, 0
	.set _ZL36rocblas_check_numerics_vector_kernelILi256EPK16rocblas_bfloat16EviT0_lllP24rocblas_check_numerics_s.has_dyn_sized_stack, 0
	.set _ZL36rocblas_check_numerics_vector_kernelILi256EPK16rocblas_bfloat16EviT0_lllP24rocblas_check_numerics_s.has_recursion, 0
	.set _ZL36rocblas_check_numerics_vector_kernelILi256EPK16rocblas_bfloat16EviT0_lllP24rocblas_check_numerics_s.has_indirect_call, 0
	.section	.AMDGPU.csdata,"",@progbits
; Kernel info:
; codeLenInByte = 476
; TotalNumSgprs: 20
; NumVgprs: 6
; ScratchSize: 0
; MemoryBound: 0
; FloatMode: 240
; IeeeMode: 1
; LDSByteSize: 0 bytes/workgroup (compile time only)
; SGPRBlocks: 2
; VGPRBlocks: 1
; NumSGPRsForWavesPerEU: 20
; NumVGPRsForWavesPerEU: 6
; Occupancy: 10
; WaveLimiterHint : 0
; COMPUTE_PGM_RSRC2:SCRATCH_EN: 0
; COMPUTE_PGM_RSRC2:USER_SGPR: 6
; COMPUTE_PGM_RSRC2:TRAP_HANDLER: 0
; COMPUTE_PGM_RSRC2:TGID_X_EN: 1
; COMPUTE_PGM_RSRC2:TGID_Y_EN: 1
; COMPUTE_PGM_RSRC2:TGID_Z_EN: 0
; COMPUTE_PGM_RSRC2:TIDIG_COMP_CNT: 0
	.section	.text._ZL36rocblas_check_numerics_vector_kernelILi256EPKPK16rocblas_bfloat16EviT0_lllP24rocblas_check_numerics_s,"axG",@progbits,_ZL36rocblas_check_numerics_vector_kernelILi256EPKPK16rocblas_bfloat16EviT0_lllP24rocblas_check_numerics_s,comdat
	.globl	_ZL36rocblas_check_numerics_vector_kernelILi256EPKPK16rocblas_bfloat16EviT0_lllP24rocblas_check_numerics_s ; -- Begin function _ZL36rocblas_check_numerics_vector_kernelILi256EPKPK16rocblas_bfloat16EviT0_lllP24rocblas_check_numerics_s
	.p2align	8
	.type	_ZL36rocblas_check_numerics_vector_kernelILi256EPKPK16rocblas_bfloat16EviT0_lllP24rocblas_check_numerics_s,@function
_ZL36rocblas_check_numerics_vector_kernelILi256EPKPK16rocblas_bfloat16EviT0_lllP24rocblas_check_numerics_s: ; @_ZL36rocblas_check_numerics_vector_kernelILi256EPKPK16rocblas_bfloat16EviT0_lllP24rocblas_check_numerics_s
; %bb.0:
	s_load_dword s2, s[4:5], 0x0
	s_load_dword s1, s[4:5], 0x3c
	v_mov_b32_e32 v1, 0
	s_waitcnt lgkmcnt(0)
	s_ashr_i32 s3, s2, 31
	s_and_b32 s1, s1, 0xffff
	s_mul_i32 s6, s6, s1
	v_add_u32_e32 v0, s6, v0
	v_cmp_gt_i64_e32 vcc, s[2:3], v[0:1]
	s_and_saveexec_b64 s[2:3], vcc
	s_cbranch_execz .LBB23_11
; %bb.1:
	s_mov_b32 s0, s7
	s_load_dwordx4 s[8:11], s[4:5], 0x8
	s_load_dwordx2 s[6:7], s[4:5], 0x18
	s_load_dwordx2 s[2:3], s[4:5], 0x28
	s_mov_b32 s1, 0
	s_lshl_b64 s[0:1], s[0:1], 3
	s_waitcnt lgkmcnt(0)
	s_add_u32 s0, s8, s0
	v_mad_u64_u32 v[2:3], s[4:5], s6, v0, 0
	s_addc_u32 s1, s9, s1
	s_load_dwordx2 s[0:1], s[0:1], 0x0
	v_mad_u64_u32 v[3:4], s[4:5], s7, v0, v[3:4]
	s_lshl_b64 s[4:5], s[10:11], 1
	global_load_ubyte v5, v1, s[2:3] offset:1
	s_waitcnt lgkmcnt(0)
	s_add_u32 s0, s0, s4
	v_lshlrev_b64 v[2:3], 1, v[2:3]
	s_addc_u32 s1, s1, s5
	v_mov_b32_e32 v4, s1
	v_add_co_u32_e32 v0, vcc, s0, v2
	v_addc_co_u32_e32 v1, vcc, v4, v3, vcc
	flat_load_ushort v1, v[0:1]
	s_waitcnt vmcnt(0)
	v_readfirstlane_b32 s0, v5
	s_bitcmp1_b32 s0, 0
	s_cselect_b64 s[0:1], -1, 0
	s_xor_b64 s[0:1], s[0:1], -1
	s_waitcnt lgkmcnt(0)
	v_and_b32_e32 v0, 0x7fff, v1
	v_cmp_eq_u16_e32 vcc, 0, v0
	s_and_b64 s[4:5], s[0:1], vcc
	s_and_saveexec_b64 s[0:1], s[4:5]
	s_cbranch_execz .LBB23_3
; %bb.2:
	v_mov_b32_e32 v2, 0
	v_mov_b32_e32 v3, 1
	global_store_byte v2, v3, s[2:3] offset:1
.LBB23_3:
	s_or_b64 exec, exec, s[0:1]
	v_mov_b32_e32 v2, 0
	global_load_ubyte v3, v2, s[2:3]
	s_waitcnt vmcnt(0)
	v_and_b32_e32 v3, 1, v3
	v_cmp_eq_u32_e32 vcc, 1, v3
	s_cbranch_vccnz .LBB23_7
; %bb.4:
	s_movk_i32 s0, 0x7f80
	v_and_b32_sdwa v3, v1, s0 dst_sel:DWORD dst_unused:UNUSED_PAD src0_sel:WORD_0 src1_sel:DWORD
	v_cmp_eq_u32_e32 vcc, s0, v3
	s_movk_i32 s0, 0x7f
	v_and_b32_sdwa v1, v1, s0 dst_sel:DWORD dst_unused:UNUSED_PAD src0_sel:WORD_0 src1_sel:DWORD
	v_cmp_ne_u32_e64 s[0:1], 0, v1
	s_and_b64 s[4:5], vcc, s[0:1]
	s_and_saveexec_b64 s[0:1], s[4:5]
	s_cbranch_execz .LBB23_6
; %bb.5:
	v_mov_b32_e32 v1, 0
	v_mov_b32_e32 v3, 1
	global_store_byte v1, v3, s[2:3]
.LBB23_6:
	s_or_b64 exec, exec, s[0:1]
.LBB23_7:
	global_load_ubyte v1, v2, s[2:3] offset:2
	s_movk_i32 s4, 0x7f80
	v_cmp_eq_u16_e32 vcc, s4, v0
	s_waitcnt vmcnt(0)
	v_readfirstlane_b32 s0, v1
	s_bitcmp1_b32 s0, 0
	s_cselect_b64 s[0:1], -1, 0
	s_xor_b64 s[0:1], s[0:1], -1
	s_and_b64 s[4:5], s[0:1], vcc
	s_and_saveexec_b64 s[0:1], s[4:5]
	s_cbranch_execz .LBB23_9
; %bb.8:
	v_mov_b32_e32 v1, 0
	v_mov_b32_e32 v2, 1
	global_store_byte v1, v2, s[2:3] offset:2
.LBB23_9:
	s_or_b64 exec, exec, s[0:1]
	v_mov_b32_e32 v1, 0
	global_load_ubyte v2, v1, s[2:3] offset:3
	s_movk_i32 s4, 0xff80
	v_add_u16_e32 v0, 0xff80, v0
	v_cmp_lt_u16_e32 vcc, s4, v0
	s_waitcnt vmcnt(0)
	v_readfirstlane_b32 s0, v2
	s_bitcmp1_b32 s0, 0
	s_cselect_b64 s[0:1], -1, 0
	s_xor_b64 s[0:1], s[0:1], -1
	s_and_b64 s[0:1], s[0:1], vcc
	s_and_b64 exec, exec, s[0:1]
	s_cbranch_execz .LBB23_11
; %bb.10:
	v_mov_b32_e32 v0, 1
	global_store_byte v1, v0, s[2:3] offset:3
.LBB23_11:
	s_endpgm
	.section	.rodata,"a",@progbits
	.p2align	6, 0x0
	.amdhsa_kernel _ZL36rocblas_check_numerics_vector_kernelILi256EPKPK16rocblas_bfloat16EviT0_lllP24rocblas_check_numerics_s
		.amdhsa_group_segment_fixed_size 0
		.amdhsa_private_segment_fixed_size 0
		.amdhsa_kernarg_size 304
		.amdhsa_user_sgpr_count 6
		.amdhsa_user_sgpr_private_segment_buffer 1
		.amdhsa_user_sgpr_dispatch_ptr 0
		.amdhsa_user_sgpr_queue_ptr 0
		.amdhsa_user_sgpr_kernarg_segment_ptr 1
		.amdhsa_user_sgpr_dispatch_id 0
		.amdhsa_user_sgpr_flat_scratch_init 0
		.amdhsa_user_sgpr_private_segment_size 0
		.amdhsa_uses_dynamic_stack 0
		.amdhsa_system_sgpr_private_segment_wavefront_offset 0
		.amdhsa_system_sgpr_workgroup_id_x 1
		.amdhsa_system_sgpr_workgroup_id_y 1
		.amdhsa_system_sgpr_workgroup_id_z 0
		.amdhsa_system_sgpr_workgroup_info 0
		.amdhsa_system_vgpr_workitem_id 0
		.amdhsa_next_free_vgpr 6
		.amdhsa_next_free_sgpr 12
		.amdhsa_reserve_vcc 1
		.amdhsa_reserve_flat_scratch 0
		.amdhsa_float_round_mode_32 0
		.amdhsa_float_round_mode_16_64 0
		.amdhsa_float_denorm_mode_32 3
		.amdhsa_float_denorm_mode_16_64 3
		.amdhsa_dx10_clamp 1
		.amdhsa_ieee_mode 1
		.amdhsa_fp16_overflow 0
		.amdhsa_exception_fp_ieee_invalid_op 0
		.amdhsa_exception_fp_denorm_src 0
		.amdhsa_exception_fp_ieee_div_zero 0
		.amdhsa_exception_fp_ieee_overflow 0
		.amdhsa_exception_fp_ieee_underflow 0
		.amdhsa_exception_fp_ieee_inexact 0
		.amdhsa_exception_int_div_zero 0
	.end_amdhsa_kernel
	.section	.text._ZL36rocblas_check_numerics_vector_kernelILi256EPKPK16rocblas_bfloat16EviT0_lllP24rocblas_check_numerics_s,"axG",@progbits,_ZL36rocblas_check_numerics_vector_kernelILi256EPKPK16rocblas_bfloat16EviT0_lllP24rocblas_check_numerics_s,comdat
.Lfunc_end23:
	.size	_ZL36rocblas_check_numerics_vector_kernelILi256EPKPK16rocblas_bfloat16EviT0_lllP24rocblas_check_numerics_s, .Lfunc_end23-_ZL36rocblas_check_numerics_vector_kernelILi256EPKPK16rocblas_bfloat16EviT0_lllP24rocblas_check_numerics_s
                                        ; -- End function
	.set _ZL36rocblas_check_numerics_vector_kernelILi256EPKPK16rocblas_bfloat16EviT0_lllP24rocblas_check_numerics_s.num_vgpr, 6
	.set _ZL36rocblas_check_numerics_vector_kernelILi256EPKPK16rocblas_bfloat16EviT0_lllP24rocblas_check_numerics_s.num_agpr, 0
	.set _ZL36rocblas_check_numerics_vector_kernelILi256EPKPK16rocblas_bfloat16EviT0_lllP24rocblas_check_numerics_s.numbered_sgpr, 12
	.set _ZL36rocblas_check_numerics_vector_kernelILi256EPKPK16rocblas_bfloat16EviT0_lllP24rocblas_check_numerics_s.num_named_barrier, 0
	.set _ZL36rocblas_check_numerics_vector_kernelILi256EPKPK16rocblas_bfloat16EviT0_lllP24rocblas_check_numerics_s.private_seg_size, 0
	.set _ZL36rocblas_check_numerics_vector_kernelILi256EPKPK16rocblas_bfloat16EviT0_lllP24rocblas_check_numerics_s.uses_vcc, 1
	.set _ZL36rocblas_check_numerics_vector_kernelILi256EPKPK16rocblas_bfloat16EviT0_lllP24rocblas_check_numerics_s.uses_flat_scratch, 0
	.set _ZL36rocblas_check_numerics_vector_kernelILi256EPKPK16rocblas_bfloat16EviT0_lllP24rocblas_check_numerics_s.has_dyn_sized_stack, 0
	.set _ZL36rocblas_check_numerics_vector_kernelILi256EPKPK16rocblas_bfloat16EviT0_lllP24rocblas_check_numerics_s.has_recursion, 0
	.set _ZL36rocblas_check_numerics_vector_kernelILi256EPKPK16rocblas_bfloat16EviT0_lllP24rocblas_check_numerics_s.has_indirect_call, 0
	.section	.AMDGPU.csdata,"",@progbits
; Kernel info:
; codeLenInByte = 488
; TotalNumSgprs: 16
; NumVgprs: 6
; ScratchSize: 0
; MemoryBound: 0
; FloatMode: 240
; IeeeMode: 1
; LDSByteSize: 0 bytes/workgroup (compile time only)
; SGPRBlocks: 1
; VGPRBlocks: 1
; NumSGPRsForWavesPerEU: 16
; NumVGPRsForWavesPerEU: 6
; Occupancy: 10
; WaveLimiterHint : 1
; COMPUTE_PGM_RSRC2:SCRATCH_EN: 0
; COMPUTE_PGM_RSRC2:USER_SGPR: 6
; COMPUTE_PGM_RSRC2:TRAP_HANDLER: 0
; COMPUTE_PGM_RSRC2:TGID_X_EN: 1
; COMPUTE_PGM_RSRC2:TGID_Y_EN: 1
; COMPUTE_PGM_RSRC2:TGID_Z_EN: 0
; COMPUTE_PGM_RSRC2:TIDIG_COMP_CNT: 0
	.section	.AMDGPU.gpr_maximums,"",@progbits
	.set amdgpu.max_num_vgpr, 0
	.set amdgpu.max_num_agpr, 0
	.set amdgpu.max_num_sgpr, 0
	.section	.AMDGPU.csdata,"",@progbits
	.type	__hip_cuid_9adf8b532f8c097f,@object ; @__hip_cuid_9adf8b532f8c097f
	.section	.bss,"aw",@nobits
	.globl	__hip_cuid_9adf8b532f8c097f
__hip_cuid_9adf8b532f8c097f:
	.byte	0                               ; 0x0
	.size	__hip_cuid_9adf8b532f8c097f, 1

	.ident	"AMD clang version 22.0.0git (https://github.com/RadeonOpenCompute/llvm-project roc-7.2.4 26084 f58b06dce1f9c15707c5f808fd002e18c2accf7e)"
	.section	".note.GNU-stack","",@progbits
	.addrsig
	.addrsig_sym __hip_cuid_9adf8b532f8c097f
	.amdgpu_metadata
---
amdhsa.kernels:
  - .args:
      - .offset:         0
        .size:           4
        .value_kind:     by_value
      - .address_space:  global
        .offset:         8
        .size:           8
        .value_kind:     global_buffer
      - .offset:         16
        .size:           8
        .value_kind:     by_value
      - .offset:         24
        .size:           8
        .value_kind:     by_value
      - .offset:         32
        .size:           8
        .value_kind:     by_value
      - .address_space:  global
        .offset:         40
        .size:           8
        .value_kind:     global_buffer
      - .offset:         48
        .size:           4
        .value_kind:     hidden_block_count_x
      - .offset:         52
        .size:           4
        .value_kind:     hidden_block_count_y
      - .offset:         56
        .size:           4
        .value_kind:     hidden_block_count_z
      - .offset:         60
        .size:           2
        .value_kind:     hidden_group_size_x
      - .offset:         62
        .size:           2
        .value_kind:     hidden_group_size_y
      - .offset:         64
        .size:           2
        .value_kind:     hidden_group_size_z
      - .offset:         66
        .size:           2
        .value_kind:     hidden_remainder_x
      - .offset:         68
        .size:           2
        .value_kind:     hidden_remainder_y
      - .offset:         70
        .size:           2
        .value_kind:     hidden_remainder_z
      - .offset:         88
        .size:           8
        .value_kind:     hidden_global_offset_x
      - .offset:         96
        .size:           8
        .value_kind:     hidden_global_offset_y
      - .offset:         104
        .size:           8
        .value_kind:     hidden_global_offset_z
      - .offset:         112
        .size:           2
        .value_kind:     hidden_grid_dims
    .group_segment_fixed_size: 0
    .kernarg_segment_align: 8
    .kernarg_segment_size: 304
    .language:       OpenCL C
    .language_version:
      - 2
      - 0
    .max_flat_workgroup_size: 256
    .name:           _ZL36rocblas_check_numerics_vector_kernelILi256EPfEviT0_lllP24rocblas_check_numerics_s
    .private_segment_fixed_size: 0
    .sgpr_count:     20
    .sgpr_spill_count: 0
    .symbol:         _ZL36rocblas_check_numerics_vector_kernelILi256EPfEviT0_lllP24rocblas_check_numerics_s.kd
    .uniform_work_group_size: 1
    .uses_dynamic_stack: false
    .vgpr_count:     6
    .vgpr_spill_count: 0
    .wavefront_size: 64
  - .args:
      - .offset:         0
        .size:           4
        .value_kind:     by_value
      - .address_space:  global
        .offset:         8
        .size:           8
        .value_kind:     global_buffer
      - .offset:         16
        .size:           8
        .value_kind:     by_value
      - .offset:         24
        .size:           8
        .value_kind:     by_value
      - .offset:         32
        .size:           8
        .value_kind:     by_value
      - .address_space:  global
        .offset:         40
        .size:           8
        .value_kind:     global_buffer
      - .offset:         48
        .size:           4
        .value_kind:     hidden_block_count_x
      - .offset:         52
        .size:           4
        .value_kind:     hidden_block_count_y
      - .offset:         56
        .size:           4
        .value_kind:     hidden_block_count_z
      - .offset:         60
        .size:           2
        .value_kind:     hidden_group_size_x
      - .offset:         62
        .size:           2
        .value_kind:     hidden_group_size_y
      - .offset:         64
        .size:           2
        .value_kind:     hidden_group_size_z
      - .offset:         66
        .size:           2
        .value_kind:     hidden_remainder_x
      - .offset:         68
        .size:           2
        .value_kind:     hidden_remainder_y
      - .offset:         70
        .size:           2
        .value_kind:     hidden_remainder_z
      - .offset:         88
        .size:           8
        .value_kind:     hidden_global_offset_x
      - .offset:         96
        .size:           8
        .value_kind:     hidden_global_offset_y
      - .offset:         104
        .size:           8
        .value_kind:     hidden_global_offset_z
      - .offset:         112
        .size:           2
        .value_kind:     hidden_grid_dims
    .group_segment_fixed_size: 0
    .kernarg_segment_align: 8
    .kernarg_segment_size: 304
    .language:       OpenCL C
    .language_version:
      - 2
      - 0
    .max_flat_workgroup_size: 256
    .name:           _ZL36rocblas_check_numerics_vector_kernelILi256EPKPfEviT0_lllP24rocblas_check_numerics_s
    .private_segment_fixed_size: 0
    .sgpr_count:     16
    .sgpr_spill_count: 0
    .symbol:         _ZL36rocblas_check_numerics_vector_kernelILi256EPKPfEviT0_lllP24rocblas_check_numerics_s.kd
    .uniform_work_group_size: 1
    .uses_dynamic_stack: false
    .vgpr_count:     6
    .vgpr_spill_count: 0
    .wavefront_size: 64
  - .args:
      - .offset:         0
        .size:           4
        .value_kind:     by_value
      - .address_space:  global
        .offset:         8
        .size:           8
        .value_kind:     global_buffer
      - .offset:         16
        .size:           8
        .value_kind:     by_value
      - .offset:         24
        .size:           8
        .value_kind:     by_value
      - .offset:         32
        .size:           8
        .value_kind:     by_value
      - .address_space:  global
        .offset:         40
        .size:           8
        .value_kind:     global_buffer
      - .offset:         48
        .size:           4
        .value_kind:     hidden_block_count_x
      - .offset:         52
        .size:           4
        .value_kind:     hidden_block_count_y
      - .offset:         56
        .size:           4
        .value_kind:     hidden_block_count_z
      - .offset:         60
        .size:           2
        .value_kind:     hidden_group_size_x
      - .offset:         62
        .size:           2
        .value_kind:     hidden_group_size_y
      - .offset:         64
        .size:           2
        .value_kind:     hidden_group_size_z
      - .offset:         66
        .size:           2
        .value_kind:     hidden_remainder_x
      - .offset:         68
        .size:           2
        .value_kind:     hidden_remainder_y
      - .offset:         70
        .size:           2
        .value_kind:     hidden_remainder_z
      - .offset:         88
        .size:           8
        .value_kind:     hidden_global_offset_x
      - .offset:         96
        .size:           8
        .value_kind:     hidden_global_offset_y
      - .offset:         104
        .size:           8
        .value_kind:     hidden_global_offset_z
      - .offset:         112
        .size:           2
        .value_kind:     hidden_grid_dims
    .group_segment_fixed_size: 0
    .kernarg_segment_align: 8
    .kernarg_segment_size: 304
    .language:       OpenCL C
    .language_version:
      - 2
      - 0
    .max_flat_workgroup_size: 256
    .name:           _ZL36rocblas_check_numerics_vector_kernelILi256EPKfEviT0_lllP24rocblas_check_numerics_s
    .private_segment_fixed_size: 0
    .sgpr_count:     20
    .sgpr_spill_count: 0
    .symbol:         _ZL36rocblas_check_numerics_vector_kernelILi256EPKfEviT0_lllP24rocblas_check_numerics_s.kd
    .uniform_work_group_size: 1
    .uses_dynamic_stack: false
    .vgpr_count:     6
    .vgpr_spill_count: 0
    .wavefront_size: 64
  - .args:
      - .offset:         0
        .size:           4
        .value_kind:     by_value
      - .address_space:  global
        .offset:         8
        .size:           8
        .value_kind:     global_buffer
      - .offset:         16
        .size:           8
        .value_kind:     by_value
      - .offset:         24
        .size:           8
        .value_kind:     by_value
      - .offset:         32
        .size:           8
        .value_kind:     by_value
      - .address_space:  global
        .offset:         40
        .size:           8
        .value_kind:     global_buffer
      - .offset:         48
        .size:           4
        .value_kind:     hidden_block_count_x
      - .offset:         52
        .size:           4
        .value_kind:     hidden_block_count_y
      - .offset:         56
        .size:           4
        .value_kind:     hidden_block_count_z
      - .offset:         60
        .size:           2
        .value_kind:     hidden_group_size_x
      - .offset:         62
        .size:           2
        .value_kind:     hidden_group_size_y
      - .offset:         64
        .size:           2
        .value_kind:     hidden_group_size_z
      - .offset:         66
        .size:           2
        .value_kind:     hidden_remainder_x
      - .offset:         68
        .size:           2
        .value_kind:     hidden_remainder_y
      - .offset:         70
        .size:           2
        .value_kind:     hidden_remainder_z
      - .offset:         88
        .size:           8
        .value_kind:     hidden_global_offset_x
      - .offset:         96
        .size:           8
        .value_kind:     hidden_global_offset_y
      - .offset:         104
        .size:           8
        .value_kind:     hidden_global_offset_z
      - .offset:         112
        .size:           2
        .value_kind:     hidden_grid_dims
    .group_segment_fixed_size: 0
    .kernarg_segment_align: 8
    .kernarg_segment_size: 304
    .language:       OpenCL C
    .language_version:
      - 2
      - 0
    .max_flat_workgroup_size: 256
    .name:           _ZL36rocblas_check_numerics_vector_kernelILi256EPKPKfEviT0_lllP24rocblas_check_numerics_s
    .private_segment_fixed_size: 0
    .sgpr_count:     16
    .sgpr_spill_count: 0
    .symbol:         _ZL36rocblas_check_numerics_vector_kernelILi256EPKPKfEviT0_lllP24rocblas_check_numerics_s.kd
    .uniform_work_group_size: 1
    .uses_dynamic_stack: false
    .vgpr_count:     6
    .vgpr_spill_count: 0
    .wavefront_size: 64
  - .args:
      - .offset:         0
        .size:           4
        .value_kind:     by_value
      - .address_space:  global
        .offset:         8
        .size:           8
        .value_kind:     global_buffer
      - .offset:         16
        .size:           8
        .value_kind:     by_value
      - .offset:         24
        .size:           8
        .value_kind:     by_value
      - .offset:         32
        .size:           8
        .value_kind:     by_value
      - .address_space:  global
        .offset:         40
        .size:           8
        .value_kind:     global_buffer
      - .offset:         48
        .size:           4
        .value_kind:     hidden_block_count_x
      - .offset:         52
        .size:           4
        .value_kind:     hidden_block_count_y
      - .offset:         56
        .size:           4
        .value_kind:     hidden_block_count_z
      - .offset:         60
        .size:           2
        .value_kind:     hidden_group_size_x
      - .offset:         62
        .size:           2
        .value_kind:     hidden_group_size_y
      - .offset:         64
        .size:           2
        .value_kind:     hidden_group_size_z
      - .offset:         66
        .size:           2
        .value_kind:     hidden_remainder_x
      - .offset:         68
        .size:           2
        .value_kind:     hidden_remainder_y
      - .offset:         70
        .size:           2
        .value_kind:     hidden_remainder_z
      - .offset:         88
        .size:           8
        .value_kind:     hidden_global_offset_x
      - .offset:         96
        .size:           8
        .value_kind:     hidden_global_offset_y
      - .offset:         104
        .size:           8
        .value_kind:     hidden_global_offset_z
      - .offset:         112
        .size:           2
        .value_kind:     hidden_grid_dims
    .group_segment_fixed_size: 0
    .kernarg_segment_align: 8
    .kernarg_segment_size: 304
    .language:       OpenCL C
    .language_version:
      - 2
      - 0
    .max_flat_workgroup_size: 256
    .name:           _ZL36rocblas_check_numerics_vector_kernelILi256EPdEviT0_lllP24rocblas_check_numerics_s
    .private_segment_fixed_size: 0
    .sgpr_count:     20
    .sgpr_spill_count: 0
    .symbol:         _ZL36rocblas_check_numerics_vector_kernelILi256EPdEviT0_lllP24rocblas_check_numerics_s.kd
    .uniform_work_group_size: 1
    .uses_dynamic_stack: false
    .vgpr_count:     6
    .vgpr_spill_count: 0
    .wavefront_size: 64
  - .args:
      - .offset:         0
        .size:           4
        .value_kind:     by_value
      - .address_space:  global
        .offset:         8
        .size:           8
        .value_kind:     global_buffer
      - .offset:         16
        .size:           8
        .value_kind:     by_value
      - .offset:         24
        .size:           8
        .value_kind:     by_value
      - .offset:         32
        .size:           8
        .value_kind:     by_value
      - .address_space:  global
        .offset:         40
        .size:           8
        .value_kind:     global_buffer
      - .offset:         48
        .size:           4
        .value_kind:     hidden_block_count_x
      - .offset:         52
        .size:           4
        .value_kind:     hidden_block_count_y
      - .offset:         56
        .size:           4
        .value_kind:     hidden_block_count_z
      - .offset:         60
        .size:           2
        .value_kind:     hidden_group_size_x
      - .offset:         62
        .size:           2
        .value_kind:     hidden_group_size_y
      - .offset:         64
        .size:           2
        .value_kind:     hidden_group_size_z
      - .offset:         66
        .size:           2
        .value_kind:     hidden_remainder_x
      - .offset:         68
        .size:           2
        .value_kind:     hidden_remainder_y
      - .offset:         70
        .size:           2
        .value_kind:     hidden_remainder_z
      - .offset:         88
        .size:           8
        .value_kind:     hidden_global_offset_x
      - .offset:         96
        .size:           8
        .value_kind:     hidden_global_offset_y
      - .offset:         104
        .size:           8
        .value_kind:     hidden_global_offset_z
      - .offset:         112
        .size:           2
        .value_kind:     hidden_grid_dims
    .group_segment_fixed_size: 0
    .kernarg_segment_align: 8
    .kernarg_segment_size: 304
    .language:       OpenCL C
    .language_version:
      - 2
      - 0
    .max_flat_workgroup_size: 256
    .name:           _ZL36rocblas_check_numerics_vector_kernelILi256EPKPdEviT0_lllP24rocblas_check_numerics_s
    .private_segment_fixed_size: 0
    .sgpr_count:     16
    .sgpr_spill_count: 0
    .symbol:         _ZL36rocblas_check_numerics_vector_kernelILi256EPKPdEviT0_lllP24rocblas_check_numerics_s.kd
    .uniform_work_group_size: 1
    .uses_dynamic_stack: false
    .vgpr_count:     6
    .vgpr_spill_count: 0
    .wavefront_size: 64
  - .args:
      - .offset:         0
        .size:           4
        .value_kind:     by_value
      - .address_space:  global
        .offset:         8
        .size:           8
        .value_kind:     global_buffer
      - .offset:         16
        .size:           8
        .value_kind:     by_value
      - .offset:         24
        .size:           8
        .value_kind:     by_value
      - .offset:         32
        .size:           8
        .value_kind:     by_value
      - .address_space:  global
        .offset:         40
        .size:           8
        .value_kind:     global_buffer
      - .offset:         48
        .size:           4
        .value_kind:     hidden_block_count_x
      - .offset:         52
        .size:           4
        .value_kind:     hidden_block_count_y
      - .offset:         56
        .size:           4
        .value_kind:     hidden_block_count_z
      - .offset:         60
        .size:           2
        .value_kind:     hidden_group_size_x
      - .offset:         62
        .size:           2
        .value_kind:     hidden_group_size_y
      - .offset:         64
        .size:           2
        .value_kind:     hidden_group_size_z
      - .offset:         66
        .size:           2
        .value_kind:     hidden_remainder_x
      - .offset:         68
        .size:           2
        .value_kind:     hidden_remainder_y
      - .offset:         70
        .size:           2
        .value_kind:     hidden_remainder_z
      - .offset:         88
        .size:           8
        .value_kind:     hidden_global_offset_x
      - .offset:         96
        .size:           8
        .value_kind:     hidden_global_offset_y
      - .offset:         104
        .size:           8
        .value_kind:     hidden_global_offset_z
      - .offset:         112
        .size:           2
        .value_kind:     hidden_grid_dims
    .group_segment_fixed_size: 0
    .kernarg_segment_align: 8
    .kernarg_segment_size: 304
    .language:       OpenCL C
    .language_version:
      - 2
      - 0
    .max_flat_workgroup_size: 256
    .name:           _ZL36rocblas_check_numerics_vector_kernelILi256EPKdEviT0_lllP24rocblas_check_numerics_s
    .private_segment_fixed_size: 0
    .sgpr_count:     20
    .sgpr_spill_count: 0
    .symbol:         _ZL36rocblas_check_numerics_vector_kernelILi256EPKdEviT0_lllP24rocblas_check_numerics_s.kd
    .uniform_work_group_size: 1
    .uses_dynamic_stack: false
    .vgpr_count:     6
    .vgpr_spill_count: 0
    .wavefront_size: 64
  - .args:
      - .offset:         0
        .size:           4
        .value_kind:     by_value
      - .address_space:  global
        .offset:         8
        .size:           8
        .value_kind:     global_buffer
      - .offset:         16
        .size:           8
        .value_kind:     by_value
      - .offset:         24
        .size:           8
        .value_kind:     by_value
      - .offset:         32
        .size:           8
        .value_kind:     by_value
      - .address_space:  global
        .offset:         40
        .size:           8
        .value_kind:     global_buffer
      - .offset:         48
        .size:           4
        .value_kind:     hidden_block_count_x
      - .offset:         52
        .size:           4
        .value_kind:     hidden_block_count_y
      - .offset:         56
        .size:           4
        .value_kind:     hidden_block_count_z
      - .offset:         60
        .size:           2
        .value_kind:     hidden_group_size_x
      - .offset:         62
        .size:           2
        .value_kind:     hidden_group_size_y
      - .offset:         64
        .size:           2
        .value_kind:     hidden_group_size_z
      - .offset:         66
        .size:           2
        .value_kind:     hidden_remainder_x
      - .offset:         68
        .size:           2
        .value_kind:     hidden_remainder_y
      - .offset:         70
        .size:           2
        .value_kind:     hidden_remainder_z
      - .offset:         88
        .size:           8
        .value_kind:     hidden_global_offset_x
      - .offset:         96
        .size:           8
        .value_kind:     hidden_global_offset_y
      - .offset:         104
        .size:           8
        .value_kind:     hidden_global_offset_z
      - .offset:         112
        .size:           2
        .value_kind:     hidden_grid_dims
    .group_segment_fixed_size: 0
    .kernarg_segment_align: 8
    .kernarg_segment_size: 304
    .language:       OpenCL C
    .language_version:
      - 2
      - 0
    .max_flat_workgroup_size: 256
    .name:           _ZL36rocblas_check_numerics_vector_kernelILi256EPKPKdEviT0_lllP24rocblas_check_numerics_s
    .private_segment_fixed_size: 0
    .sgpr_count:     16
    .sgpr_spill_count: 0
    .symbol:         _ZL36rocblas_check_numerics_vector_kernelILi256EPKPKdEviT0_lllP24rocblas_check_numerics_s.kd
    .uniform_work_group_size: 1
    .uses_dynamic_stack: false
    .vgpr_count:     6
    .vgpr_spill_count: 0
    .wavefront_size: 64
  - .args:
      - .offset:         0
        .size:           4
        .value_kind:     by_value
      - .address_space:  global
        .offset:         8
        .size:           8
        .value_kind:     global_buffer
      - .offset:         16
        .size:           8
        .value_kind:     by_value
      - .offset:         24
        .size:           8
        .value_kind:     by_value
      - .offset:         32
        .size:           8
        .value_kind:     by_value
      - .address_space:  global
        .offset:         40
        .size:           8
        .value_kind:     global_buffer
      - .offset:         48
        .size:           4
        .value_kind:     hidden_block_count_x
      - .offset:         52
        .size:           4
        .value_kind:     hidden_block_count_y
      - .offset:         56
        .size:           4
        .value_kind:     hidden_block_count_z
      - .offset:         60
        .size:           2
        .value_kind:     hidden_group_size_x
      - .offset:         62
        .size:           2
        .value_kind:     hidden_group_size_y
      - .offset:         64
        .size:           2
        .value_kind:     hidden_group_size_z
      - .offset:         66
        .size:           2
        .value_kind:     hidden_remainder_x
      - .offset:         68
        .size:           2
        .value_kind:     hidden_remainder_y
      - .offset:         70
        .size:           2
        .value_kind:     hidden_remainder_z
      - .offset:         88
        .size:           8
        .value_kind:     hidden_global_offset_x
      - .offset:         96
        .size:           8
        .value_kind:     hidden_global_offset_y
      - .offset:         104
        .size:           8
        .value_kind:     hidden_global_offset_z
      - .offset:         112
        .size:           2
        .value_kind:     hidden_grid_dims
    .group_segment_fixed_size: 0
    .kernarg_segment_align: 8
    .kernarg_segment_size: 304
    .language:       OpenCL C
    .language_version:
      - 2
      - 0
    .max_flat_workgroup_size: 256
    .name:           _ZL36rocblas_check_numerics_vector_kernelILi256EP19rocblas_complex_numIfEEviT0_lllP24rocblas_check_numerics_s
    .private_segment_fixed_size: 0
    .sgpr_count:     20
    .sgpr_spill_count: 0
    .symbol:         _ZL36rocblas_check_numerics_vector_kernelILi256EP19rocblas_complex_numIfEEviT0_lllP24rocblas_check_numerics_s.kd
    .uniform_work_group_size: 1
    .uses_dynamic_stack: false
    .vgpr_count:     6
    .vgpr_spill_count: 0
    .wavefront_size: 64
  - .args:
      - .offset:         0
        .size:           4
        .value_kind:     by_value
      - .address_space:  global
        .offset:         8
        .size:           8
        .value_kind:     global_buffer
      - .offset:         16
        .size:           8
        .value_kind:     by_value
      - .offset:         24
        .size:           8
        .value_kind:     by_value
      - .offset:         32
        .size:           8
        .value_kind:     by_value
      - .address_space:  global
        .offset:         40
        .size:           8
        .value_kind:     global_buffer
      - .offset:         48
        .size:           4
        .value_kind:     hidden_block_count_x
      - .offset:         52
        .size:           4
        .value_kind:     hidden_block_count_y
      - .offset:         56
        .size:           4
        .value_kind:     hidden_block_count_z
      - .offset:         60
        .size:           2
        .value_kind:     hidden_group_size_x
      - .offset:         62
        .size:           2
        .value_kind:     hidden_group_size_y
      - .offset:         64
        .size:           2
        .value_kind:     hidden_group_size_z
      - .offset:         66
        .size:           2
        .value_kind:     hidden_remainder_x
      - .offset:         68
        .size:           2
        .value_kind:     hidden_remainder_y
      - .offset:         70
        .size:           2
        .value_kind:     hidden_remainder_z
      - .offset:         88
        .size:           8
        .value_kind:     hidden_global_offset_x
      - .offset:         96
        .size:           8
        .value_kind:     hidden_global_offset_y
      - .offset:         104
        .size:           8
        .value_kind:     hidden_global_offset_z
      - .offset:         112
        .size:           2
        .value_kind:     hidden_grid_dims
    .group_segment_fixed_size: 0
    .kernarg_segment_align: 8
    .kernarg_segment_size: 304
    .language:       OpenCL C
    .language_version:
      - 2
      - 0
    .max_flat_workgroup_size: 256
    .name:           _ZL36rocblas_check_numerics_vector_kernelILi256EPKP19rocblas_complex_numIfEEviT0_lllP24rocblas_check_numerics_s
    .private_segment_fixed_size: 0
    .sgpr_count:     16
    .sgpr_spill_count: 0
    .symbol:         _ZL36rocblas_check_numerics_vector_kernelILi256EPKP19rocblas_complex_numIfEEviT0_lllP24rocblas_check_numerics_s.kd
    .uniform_work_group_size: 1
    .uses_dynamic_stack: false
    .vgpr_count:     6
    .vgpr_spill_count: 0
    .wavefront_size: 64
  - .args:
      - .offset:         0
        .size:           4
        .value_kind:     by_value
      - .address_space:  global
        .offset:         8
        .size:           8
        .value_kind:     global_buffer
      - .offset:         16
        .size:           8
        .value_kind:     by_value
      - .offset:         24
        .size:           8
        .value_kind:     by_value
      - .offset:         32
        .size:           8
        .value_kind:     by_value
      - .address_space:  global
        .offset:         40
        .size:           8
        .value_kind:     global_buffer
      - .offset:         48
        .size:           4
        .value_kind:     hidden_block_count_x
      - .offset:         52
        .size:           4
        .value_kind:     hidden_block_count_y
      - .offset:         56
        .size:           4
        .value_kind:     hidden_block_count_z
      - .offset:         60
        .size:           2
        .value_kind:     hidden_group_size_x
      - .offset:         62
        .size:           2
        .value_kind:     hidden_group_size_y
      - .offset:         64
        .size:           2
        .value_kind:     hidden_group_size_z
      - .offset:         66
        .size:           2
        .value_kind:     hidden_remainder_x
      - .offset:         68
        .size:           2
        .value_kind:     hidden_remainder_y
      - .offset:         70
        .size:           2
        .value_kind:     hidden_remainder_z
      - .offset:         88
        .size:           8
        .value_kind:     hidden_global_offset_x
      - .offset:         96
        .size:           8
        .value_kind:     hidden_global_offset_y
      - .offset:         104
        .size:           8
        .value_kind:     hidden_global_offset_z
      - .offset:         112
        .size:           2
        .value_kind:     hidden_grid_dims
    .group_segment_fixed_size: 0
    .kernarg_segment_align: 8
    .kernarg_segment_size: 304
    .language:       OpenCL C
    .language_version:
      - 2
      - 0
    .max_flat_workgroup_size: 256
    .name:           _ZL36rocblas_check_numerics_vector_kernelILi256EPK19rocblas_complex_numIfEEviT0_lllP24rocblas_check_numerics_s
    .private_segment_fixed_size: 0
    .sgpr_count:     20
    .sgpr_spill_count: 0
    .symbol:         _ZL36rocblas_check_numerics_vector_kernelILi256EPK19rocblas_complex_numIfEEviT0_lllP24rocblas_check_numerics_s.kd
    .uniform_work_group_size: 1
    .uses_dynamic_stack: false
    .vgpr_count:     6
    .vgpr_spill_count: 0
    .wavefront_size: 64
  - .args:
      - .offset:         0
        .size:           4
        .value_kind:     by_value
      - .address_space:  global
        .offset:         8
        .size:           8
        .value_kind:     global_buffer
      - .offset:         16
        .size:           8
        .value_kind:     by_value
      - .offset:         24
        .size:           8
        .value_kind:     by_value
      - .offset:         32
        .size:           8
        .value_kind:     by_value
      - .address_space:  global
        .offset:         40
        .size:           8
        .value_kind:     global_buffer
      - .offset:         48
        .size:           4
        .value_kind:     hidden_block_count_x
      - .offset:         52
        .size:           4
        .value_kind:     hidden_block_count_y
      - .offset:         56
        .size:           4
        .value_kind:     hidden_block_count_z
      - .offset:         60
        .size:           2
        .value_kind:     hidden_group_size_x
      - .offset:         62
        .size:           2
        .value_kind:     hidden_group_size_y
      - .offset:         64
        .size:           2
        .value_kind:     hidden_group_size_z
      - .offset:         66
        .size:           2
        .value_kind:     hidden_remainder_x
      - .offset:         68
        .size:           2
        .value_kind:     hidden_remainder_y
      - .offset:         70
        .size:           2
        .value_kind:     hidden_remainder_z
      - .offset:         88
        .size:           8
        .value_kind:     hidden_global_offset_x
      - .offset:         96
        .size:           8
        .value_kind:     hidden_global_offset_y
      - .offset:         104
        .size:           8
        .value_kind:     hidden_global_offset_z
      - .offset:         112
        .size:           2
        .value_kind:     hidden_grid_dims
    .group_segment_fixed_size: 0
    .kernarg_segment_align: 8
    .kernarg_segment_size: 304
    .language:       OpenCL C
    .language_version:
      - 2
      - 0
    .max_flat_workgroup_size: 256
    .name:           _ZL36rocblas_check_numerics_vector_kernelILi256EPKPK19rocblas_complex_numIfEEviT0_lllP24rocblas_check_numerics_s
    .private_segment_fixed_size: 0
    .sgpr_count:     16
    .sgpr_spill_count: 0
    .symbol:         _ZL36rocblas_check_numerics_vector_kernelILi256EPKPK19rocblas_complex_numIfEEviT0_lllP24rocblas_check_numerics_s.kd
    .uniform_work_group_size: 1
    .uses_dynamic_stack: false
    .vgpr_count:     6
    .vgpr_spill_count: 0
    .wavefront_size: 64
  - .args:
      - .offset:         0
        .size:           4
        .value_kind:     by_value
      - .address_space:  global
        .offset:         8
        .size:           8
        .value_kind:     global_buffer
      - .offset:         16
        .size:           8
        .value_kind:     by_value
      - .offset:         24
        .size:           8
        .value_kind:     by_value
      - .offset:         32
        .size:           8
        .value_kind:     by_value
      - .address_space:  global
        .offset:         40
        .size:           8
        .value_kind:     global_buffer
      - .offset:         48
        .size:           4
        .value_kind:     hidden_block_count_x
      - .offset:         52
        .size:           4
        .value_kind:     hidden_block_count_y
      - .offset:         56
        .size:           4
        .value_kind:     hidden_block_count_z
      - .offset:         60
        .size:           2
        .value_kind:     hidden_group_size_x
      - .offset:         62
        .size:           2
        .value_kind:     hidden_group_size_y
      - .offset:         64
        .size:           2
        .value_kind:     hidden_group_size_z
      - .offset:         66
        .size:           2
        .value_kind:     hidden_remainder_x
      - .offset:         68
        .size:           2
        .value_kind:     hidden_remainder_y
      - .offset:         70
        .size:           2
        .value_kind:     hidden_remainder_z
      - .offset:         88
        .size:           8
        .value_kind:     hidden_global_offset_x
      - .offset:         96
        .size:           8
        .value_kind:     hidden_global_offset_y
      - .offset:         104
        .size:           8
        .value_kind:     hidden_global_offset_z
      - .offset:         112
        .size:           2
        .value_kind:     hidden_grid_dims
    .group_segment_fixed_size: 0
    .kernarg_segment_align: 8
    .kernarg_segment_size: 304
    .language:       OpenCL C
    .language_version:
      - 2
      - 0
    .max_flat_workgroup_size: 256
    .name:           _ZL36rocblas_check_numerics_vector_kernelILi256EP19rocblas_complex_numIdEEviT0_lllP24rocblas_check_numerics_s
    .private_segment_fixed_size: 0
    .sgpr_count:     24
    .sgpr_spill_count: 0
    .symbol:         _ZL36rocblas_check_numerics_vector_kernelILi256EP19rocblas_complex_numIdEEviT0_lllP24rocblas_check_numerics_s.kd
    .uniform_work_group_size: 1
    .uses_dynamic_stack: false
    .vgpr_count:     7
    .vgpr_spill_count: 0
    .wavefront_size: 64
  - .args:
      - .offset:         0
        .size:           4
        .value_kind:     by_value
      - .address_space:  global
        .offset:         8
        .size:           8
        .value_kind:     global_buffer
      - .offset:         16
        .size:           8
        .value_kind:     by_value
      - .offset:         24
        .size:           8
        .value_kind:     by_value
      - .offset:         32
        .size:           8
        .value_kind:     by_value
      - .address_space:  global
        .offset:         40
        .size:           8
        .value_kind:     global_buffer
      - .offset:         48
        .size:           4
        .value_kind:     hidden_block_count_x
      - .offset:         52
        .size:           4
        .value_kind:     hidden_block_count_y
      - .offset:         56
        .size:           4
        .value_kind:     hidden_block_count_z
      - .offset:         60
        .size:           2
        .value_kind:     hidden_group_size_x
      - .offset:         62
        .size:           2
        .value_kind:     hidden_group_size_y
      - .offset:         64
        .size:           2
        .value_kind:     hidden_group_size_z
      - .offset:         66
        .size:           2
        .value_kind:     hidden_remainder_x
      - .offset:         68
        .size:           2
        .value_kind:     hidden_remainder_y
      - .offset:         70
        .size:           2
        .value_kind:     hidden_remainder_z
      - .offset:         88
        .size:           8
        .value_kind:     hidden_global_offset_x
      - .offset:         96
        .size:           8
        .value_kind:     hidden_global_offset_y
      - .offset:         104
        .size:           8
        .value_kind:     hidden_global_offset_z
      - .offset:         112
        .size:           2
        .value_kind:     hidden_grid_dims
    .group_segment_fixed_size: 0
    .kernarg_segment_align: 8
    .kernarg_segment_size: 304
    .language:       OpenCL C
    .language_version:
      - 2
      - 0
    .max_flat_workgroup_size: 256
    .name:           _ZL36rocblas_check_numerics_vector_kernelILi256EPKP19rocblas_complex_numIdEEviT0_lllP24rocblas_check_numerics_s
    .private_segment_fixed_size: 0
    .sgpr_count:     16
    .sgpr_spill_count: 0
    .symbol:         _ZL36rocblas_check_numerics_vector_kernelILi256EPKP19rocblas_complex_numIdEEviT0_lllP24rocblas_check_numerics_s.kd
    .uniform_work_group_size: 1
    .uses_dynamic_stack: false
    .vgpr_count:     7
    .vgpr_spill_count: 0
    .wavefront_size: 64
  - .args:
      - .offset:         0
        .size:           4
        .value_kind:     by_value
      - .address_space:  global
        .offset:         8
        .size:           8
        .value_kind:     global_buffer
      - .offset:         16
        .size:           8
        .value_kind:     by_value
      - .offset:         24
        .size:           8
        .value_kind:     by_value
      - .offset:         32
        .size:           8
        .value_kind:     by_value
      - .address_space:  global
        .offset:         40
        .size:           8
        .value_kind:     global_buffer
      - .offset:         48
        .size:           4
        .value_kind:     hidden_block_count_x
      - .offset:         52
        .size:           4
        .value_kind:     hidden_block_count_y
      - .offset:         56
        .size:           4
        .value_kind:     hidden_block_count_z
      - .offset:         60
        .size:           2
        .value_kind:     hidden_group_size_x
      - .offset:         62
        .size:           2
        .value_kind:     hidden_group_size_y
      - .offset:         64
        .size:           2
        .value_kind:     hidden_group_size_z
      - .offset:         66
        .size:           2
        .value_kind:     hidden_remainder_x
      - .offset:         68
        .size:           2
        .value_kind:     hidden_remainder_y
      - .offset:         70
        .size:           2
        .value_kind:     hidden_remainder_z
      - .offset:         88
        .size:           8
        .value_kind:     hidden_global_offset_x
      - .offset:         96
        .size:           8
        .value_kind:     hidden_global_offset_y
      - .offset:         104
        .size:           8
        .value_kind:     hidden_global_offset_z
      - .offset:         112
        .size:           2
        .value_kind:     hidden_grid_dims
    .group_segment_fixed_size: 0
    .kernarg_segment_align: 8
    .kernarg_segment_size: 304
    .language:       OpenCL C
    .language_version:
      - 2
      - 0
    .max_flat_workgroup_size: 256
    .name:           _ZL36rocblas_check_numerics_vector_kernelILi256EPK19rocblas_complex_numIdEEviT0_lllP24rocblas_check_numerics_s
    .private_segment_fixed_size: 0
    .sgpr_count:     24
    .sgpr_spill_count: 0
    .symbol:         _ZL36rocblas_check_numerics_vector_kernelILi256EPK19rocblas_complex_numIdEEviT0_lllP24rocblas_check_numerics_s.kd
    .uniform_work_group_size: 1
    .uses_dynamic_stack: false
    .vgpr_count:     7
    .vgpr_spill_count: 0
    .wavefront_size: 64
  - .args:
      - .offset:         0
        .size:           4
        .value_kind:     by_value
      - .address_space:  global
        .offset:         8
        .size:           8
        .value_kind:     global_buffer
      - .offset:         16
        .size:           8
        .value_kind:     by_value
      - .offset:         24
        .size:           8
        .value_kind:     by_value
      - .offset:         32
        .size:           8
        .value_kind:     by_value
      - .address_space:  global
        .offset:         40
        .size:           8
        .value_kind:     global_buffer
      - .offset:         48
        .size:           4
        .value_kind:     hidden_block_count_x
      - .offset:         52
        .size:           4
        .value_kind:     hidden_block_count_y
      - .offset:         56
        .size:           4
        .value_kind:     hidden_block_count_z
      - .offset:         60
        .size:           2
        .value_kind:     hidden_group_size_x
      - .offset:         62
        .size:           2
        .value_kind:     hidden_group_size_y
      - .offset:         64
        .size:           2
        .value_kind:     hidden_group_size_z
      - .offset:         66
        .size:           2
        .value_kind:     hidden_remainder_x
      - .offset:         68
        .size:           2
        .value_kind:     hidden_remainder_y
      - .offset:         70
        .size:           2
        .value_kind:     hidden_remainder_z
      - .offset:         88
        .size:           8
        .value_kind:     hidden_global_offset_x
      - .offset:         96
        .size:           8
        .value_kind:     hidden_global_offset_y
      - .offset:         104
        .size:           8
        .value_kind:     hidden_global_offset_z
      - .offset:         112
        .size:           2
        .value_kind:     hidden_grid_dims
    .group_segment_fixed_size: 0
    .kernarg_segment_align: 8
    .kernarg_segment_size: 304
    .language:       OpenCL C
    .language_version:
      - 2
      - 0
    .max_flat_workgroup_size: 256
    .name:           _ZL36rocblas_check_numerics_vector_kernelILi256EPKPK19rocblas_complex_numIdEEviT0_lllP24rocblas_check_numerics_s
    .private_segment_fixed_size: 0
    .sgpr_count:     16
    .sgpr_spill_count: 0
    .symbol:         _ZL36rocblas_check_numerics_vector_kernelILi256EPKPK19rocblas_complex_numIdEEviT0_lllP24rocblas_check_numerics_s.kd
    .uniform_work_group_size: 1
    .uses_dynamic_stack: false
    .vgpr_count:     7
    .vgpr_spill_count: 0
    .wavefront_size: 64
  - .args:
      - .offset:         0
        .size:           4
        .value_kind:     by_value
      - .address_space:  global
        .offset:         8
        .size:           8
        .value_kind:     global_buffer
      - .offset:         16
        .size:           8
        .value_kind:     by_value
      - .offset:         24
        .size:           8
        .value_kind:     by_value
      - .offset:         32
        .size:           8
        .value_kind:     by_value
      - .address_space:  global
        .offset:         40
        .size:           8
        .value_kind:     global_buffer
      - .offset:         48
        .size:           4
        .value_kind:     hidden_block_count_x
      - .offset:         52
        .size:           4
        .value_kind:     hidden_block_count_y
      - .offset:         56
        .size:           4
        .value_kind:     hidden_block_count_z
      - .offset:         60
        .size:           2
        .value_kind:     hidden_group_size_x
      - .offset:         62
        .size:           2
        .value_kind:     hidden_group_size_y
      - .offset:         64
        .size:           2
        .value_kind:     hidden_group_size_z
      - .offset:         66
        .size:           2
        .value_kind:     hidden_remainder_x
      - .offset:         68
        .size:           2
        .value_kind:     hidden_remainder_y
      - .offset:         70
        .size:           2
        .value_kind:     hidden_remainder_z
      - .offset:         88
        .size:           8
        .value_kind:     hidden_global_offset_x
      - .offset:         96
        .size:           8
        .value_kind:     hidden_global_offset_y
      - .offset:         104
        .size:           8
        .value_kind:     hidden_global_offset_z
      - .offset:         112
        .size:           2
        .value_kind:     hidden_grid_dims
    .group_segment_fixed_size: 0
    .kernarg_segment_align: 8
    .kernarg_segment_size: 304
    .language:       OpenCL C
    .language_version:
      - 2
      - 0
    .max_flat_workgroup_size: 256
    .name:           _ZL36rocblas_check_numerics_vector_kernelILi256EPDF16_EviT0_lllP24rocblas_check_numerics_s
    .private_segment_fixed_size: 0
    .sgpr_count:     20
    .sgpr_spill_count: 0
    .symbol:         _ZL36rocblas_check_numerics_vector_kernelILi256EPDF16_EviT0_lllP24rocblas_check_numerics_s.kd
    .uniform_work_group_size: 1
    .uses_dynamic_stack: false
    .vgpr_count:     6
    .vgpr_spill_count: 0
    .wavefront_size: 64
  - .args:
      - .offset:         0
        .size:           4
        .value_kind:     by_value
      - .address_space:  global
        .offset:         8
        .size:           8
        .value_kind:     global_buffer
      - .offset:         16
        .size:           8
        .value_kind:     by_value
      - .offset:         24
        .size:           8
        .value_kind:     by_value
      - .offset:         32
        .size:           8
        .value_kind:     by_value
      - .address_space:  global
        .offset:         40
        .size:           8
        .value_kind:     global_buffer
      - .offset:         48
        .size:           4
        .value_kind:     hidden_block_count_x
      - .offset:         52
        .size:           4
        .value_kind:     hidden_block_count_y
      - .offset:         56
        .size:           4
        .value_kind:     hidden_block_count_z
      - .offset:         60
        .size:           2
        .value_kind:     hidden_group_size_x
      - .offset:         62
        .size:           2
        .value_kind:     hidden_group_size_y
      - .offset:         64
        .size:           2
        .value_kind:     hidden_group_size_z
      - .offset:         66
        .size:           2
        .value_kind:     hidden_remainder_x
      - .offset:         68
        .size:           2
        .value_kind:     hidden_remainder_y
      - .offset:         70
        .size:           2
        .value_kind:     hidden_remainder_z
      - .offset:         88
        .size:           8
        .value_kind:     hidden_global_offset_x
      - .offset:         96
        .size:           8
        .value_kind:     hidden_global_offset_y
      - .offset:         104
        .size:           8
        .value_kind:     hidden_global_offset_z
      - .offset:         112
        .size:           2
        .value_kind:     hidden_grid_dims
    .group_segment_fixed_size: 0
    .kernarg_segment_align: 8
    .kernarg_segment_size: 304
    .language:       OpenCL C
    .language_version:
      - 2
      - 0
    .max_flat_workgroup_size: 256
    .name:           _ZL36rocblas_check_numerics_vector_kernelILi256EPKPDF16_EviT0_lllP24rocblas_check_numerics_s
    .private_segment_fixed_size: 0
    .sgpr_count:     16
    .sgpr_spill_count: 0
    .symbol:         _ZL36rocblas_check_numerics_vector_kernelILi256EPKPDF16_EviT0_lllP24rocblas_check_numerics_s.kd
    .uniform_work_group_size: 1
    .uses_dynamic_stack: false
    .vgpr_count:     6
    .vgpr_spill_count: 0
    .wavefront_size: 64
  - .args:
      - .offset:         0
        .size:           4
        .value_kind:     by_value
      - .address_space:  global
        .offset:         8
        .size:           8
        .value_kind:     global_buffer
      - .offset:         16
        .size:           8
        .value_kind:     by_value
      - .offset:         24
        .size:           8
        .value_kind:     by_value
      - .offset:         32
        .size:           8
        .value_kind:     by_value
      - .address_space:  global
        .offset:         40
        .size:           8
        .value_kind:     global_buffer
      - .offset:         48
        .size:           4
        .value_kind:     hidden_block_count_x
      - .offset:         52
        .size:           4
        .value_kind:     hidden_block_count_y
      - .offset:         56
        .size:           4
        .value_kind:     hidden_block_count_z
      - .offset:         60
        .size:           2
        .value_kind:     hidden_group_size_x
      - .offset:         62
        .size:           2
        .value_kind:     hidden_group_size_y
      - .offset:         64
        .size:           2
        .value_kind:     hidden_group_size_z
      - .offset:         66
        .size:           2
        .value_kind:     hidden_remainder_x
      - .offset:         68
        .size:           2
        .value_kind:     hidden_remainder_y
      - .offset:         70
        .size:           2
        .value_kind:     hidden_remainder_z
      - .offset:         88
        .size:           8
        .value_kind:     hidden_global_offset_x
      - .offset:         96
        .size:           8
        .value_kind:     hidden_global_offset_y
      - .offset:         104
        .size:           8
        .value_kind:     hidden_global_offset_z
      - .offset:         112
        .size:           2
        .value_kind:     hidden_grid_dims
    .group_segment_fixed_size: 0
    .kernarg_segment_align: 8
    .kernarg_segment_size: 304
    .language:       OpenCL C
    .language_version:
      - 2
      - 0
    .max_flat_workgroup_size: 256
    .name:           _ZL36rocblas_check_numerics_vector_kernelILi256EPKDF16_EviT0_lllP24rocblas_check_numerics_s
    .private_segment_fixed_size: 0
    .sgpr_count:     20
    .sgpr_spill_count: 0
    .symbol:         _ZL36rocblas_check_numerics_vector_kernelILi256EPKDF16_EviT0_lllP24rocblas_check_numerics_s.kd
    .uniform_work_group_size: 1
    .uses_dynamic_stack: false
    .vgpr_count:     6
    .vgpr_spill_count: 0
    .wavefront_size: 64
  - .args:
      - .offset:         0
        .size:           4
        .value_kind:     by_value
      - .address_space:  global
        .offset:         8
        .size:           8
        .value_kind:     global_buffer
      - .offset:         16
        .size:           8
        .value_kind:     by_value
      - .offset:         24
        .size:           8
        .value_kind:     by_value
      - .offset:         32
        .size:           8
        .value_kind:     by_value
      - .address_space:  global
        .offset:         40
        .size:           8
        .value_kind:     global_buffer
      - .offset:         48
        .size:           4
        .value_kind:     hidden_block_count_x
      - .offset:         52
        .size:           4
        .value_kind:     hidden_block_count_y
      - .offset:         56
        .size:           4
        .value_kind:     hidden_block_count_z
      - .offset:         60
        .size:           2
        .value_kind:     hidden_group_size_x
      - .offset:         62
        .size:           2
        .value_kind:     hidden_group_size_y
      - .offset:         64
        .size:           2
        .value_kind:     hidden_group_size_z
      - .offset:         66
        .size:           2
        .value_kind:     hidden_remainder_x
      - .offset:         68
        .size:           2
        .value_kind:     hidden_remainder_y
      - .offset:         70
        .size:           2
        .value_kind:     hidden_remainder_z
      - .offset:         88
        .size:           8
        .value_kind:     hidden_global_offset_x
      - .offset:         96
        .size:           8
        .value_kind:     hidden_global_offset_y
      - .offset:         104
        .size:           8
        .value_kind:     hidden_global_offset_z
      - .offset:         112
        .size:           2
        .value_kind:     hidden_grid_dims
    .group_segment_fixed_size: 0
    .kernarg_segment_align: 8
    .kernarg_segment_size: 304
    .language:       OpenCL C
    .language_version:
      - 2
      - 0
    .max_flat_workgroup_size: 256
    .name:           _ZL36rocblas_check_numerics_vector_kernelILi256EPKPKDF16_EviT0_lllP24rocblas_check_numerics_s
    .private_segment_fixed_size: 0
    .sgpr_count:     16
    .sgpr_spill_count: 0
    .symbol:         _ZL36rocblas_check_numerics_vector_kernelILi256EPKPKDF16_EviT0_lllP24rocblas_check_numerics_s.kd
    .uniform_work_group_size: 1
    .uses_dynamic_stack: false
    .vgpr_count:     6
    .vgpr_spill_count: 0
    .wavefront_size: 64
  - .args:
      - .offset:         0
        .size:           4
        .value_kind:     by_value
      - .address_space:  global
        .offset:         8
        .size:           8
        .value_kind:     global_buffer
      - .offset:         16
        .size:           8
        .value_kind:     by_value
      - .offset:         24
        .size:           8
        .value_kind:     by_value
      - .offset:         32
        .size:           8
        .value_kind:     by_value
      - .address_space:  global
        .offset:         40
        .size:           8
        .value_kind:     global_buffer
      - .offset:         48
        .size:           4
        .value_kind:     hidden_block_count_x
      - .offset:         52
        .size:           4
        .value_kind:     hidden_block_count_y
      - .offset:         56
        .size:           4
        .value_kind:     hidden_block_count_z
      - .offset:         60
        .size:           2
        .value_kind:     hidden_group_size_x
      - .offset:         62
        .size:           2
        .value_kind:     hidden_group_size_y
      - .offset:         64
        .size:           2
        .value_kind:     hidden_group_size_z
      - .offset:         66
        .size:           2
        .value_kind:     hidden_remainder_x
      - .offset:         68
        .size:           2
        .value_kind:     hidden_remainder_y
      - .offset:         70
        .size:           2
        .value_kind:     hidden_remainder_z
      - .offset:         88
        .size:           8
        .value_kind:     hidden_global_offset_x
      - .offset:         96
        .size:           8
        .value_kind:     hidden_global_offset_y
      - .offset:         104
        .size:           8
        .value_kind:     hidden_global_offset_z
      - .offset:         112
        .size:           2
        .value_kind:     hidden_grid_dims
    .group_segment_fixed_size: 0
    .kernarg_segment_align: 8
    .kernarg_segment_size: 304
    .language:       OpenCL C
    .language_version:
      - 2
      - 0
    .max_flat_workgroup_size: 256
    .name:           _ZL36rocblas_check_numerics_vector_kernelILi256EP16rocblas_bfloat16EviT0_lllP24rocblas_check_numerics_s
    .private_segment_fixed_size: 0
    .sgpr_count:     20
    .sgpr_spill_count: 0
    .symbol:         _ZL36rocblas_check_numerics_vector_kernelILi256EP16rocblas_bfloat16EviT0_lllP24rocblas_check_numerics_s.kd
    .uniform_work_group_size: 1
    .uses_dynamic_stack: false
    .vgpr_count:     6
    .vgpr_spill_count: 0
    .wavefront_size: 64
  - .args:
      - .offset:         0
        .size:           4
        .value_kind:     by_value
      - .address_space:  global
        .offset:         8
        .size:           8
        .value_kind:     global_buffer
      - .offset:         16
        .size:           8
        .value_kind:     by_value
      - .offset:         24
        .size:           8
        .value_kind:     by_value
      - .offset:         32
        .size:           8
        .value_kind:     by_value
      - .address_space:  global
        .offset:         40
        .size:           8
        .value_kind:     global_buffer
      - .offset:         48
        .size:           4
        .value_kind:     hidden_block_count_x
      - .offset:         52
        .size:           4
        .value_kind:     hidden_block_count_y
      - .offset:         56
        .size:           4
        .value_kind:     hidden_block_count_z
      - .offset:         60
        .size:           2
        .value_kind:     hidden_group_size_x
      - .offset:         62
        .size:           2
        .value_kind:     hidden_group_size_y
      - .offset:         64
        .size:           2
        .value_kind:     hidden_group_size_z
      - .offset:         66
        .size:           2
        .value_kind:     hidden_remainder_x
      - .offset:         68
        .size:           2
        .value_kind:     hidden_remainder_y
      - .offset:         70
        .size:           2
        .value_kind:     hidden_remainder_z
      - .offset:         88
        .size:           8
        .value_kind:     hidden_global_offset_x
      - .offset:         96
        .size:           8
        .value_kind:     hidden_global_offset_y
      - .offset:         104
        .size:           8
        .value_kind:     hidden_global_offset_z
      - .offset:         112
        .size:           2
        .value_kind:     hidden_grid_dims
    .group_segment_fixed_size: 0
    .kernarg_segment_align: 8
    .kernarg_segment_size: 304
    .language:       OpenCL C
    .language_version:
      - 2
      - 0
    .max_flat_workgroup_size: 256
    .name:           _ZL36rocblas_check_numerics_vector_kernelILi256EPKP16rocblas_bfloat16EviT0_lllP24rocblas_check_numerics_s
    .private_segment_fixed_size: 0
    .sgpr_count:     16
    .sgpr_spill_count: 0
    .symbol:         _ZL36rocblas_check_numerics_vector_kernelILi256EPKP16rocblas_bfloat16EviT0_lllP24rocblas_check_numerics_s.kd
    .uniform_work_group_size: 1
    .uses_dynamic_stack: false
    .vgpr_count:     6
    .vgpr_spill_count: 0
    .wavefront_size: 64
  - .args:
      - .offset:         0
        .size:           4
        .value_kind:     by_value
      - .address_space:  global
        .offset:         8
        .size:           8
        .value_kind:     global_buffer
      - .offset:         16
        .size:           8
        .value_kind:     by_value
      - .offset:         24
        .size:           8
        .value_kind:     by_value
      - .offset:         32
        .size:           8
        .value_kind:     by_value
      - .address_space:  global
        .offset:         40
        .size:           8
        .value_kind:     global_buffer
      - .offset:         48
        .size:           4
        .value_kind:     hidden_block_count_x
      - .offset:         52
        .size:           4
        .value_kind:     hidden_block_count_y
      - .offset:         56
        .size:           4
        .value_kind:     hidden_block_count_z
      - .offset:         60
        .size:           2
        .value_kind:     hidden_group_size_x
      - .offset:         62
        .size:           2
        .value_kind:     hidden_group_size_y
      - .offset:         64
        .size:           2
        .value_kind:     hidden_group_size_z
      - .offset:         66
        .size:           2
        .value_kind:     hidden_remainder_x
      - .offset:         68
        .size:           2
        .value_kind:     hidden_remainder_y
      - .offset:         70
        .size:           2
        .value_kind:     hidden_remainder_z
      - .offset:         88
        .size:           8
        .value_kind:     hidden_global_offset_x
      - .offset:         96
        .size:           8
        .value_kind:     hidden_global_offset_y
      - .offset:         104
        .size:           8
        .value_kind:     hidden_global_offset_z
      - .offset:         112
        .size:           2
        .value_kind:     hidden_grid_dims
    .group_segment_fixed_size: 0
    .kernarg_segment_align: 8
    .kernarg_segment_size: 304
    .language:       OpenCL C
    .language_version:
      - 2
      - 0
    .max_flat_workgroup_size: 256
    .name:           _ZL36rocblas_check_numerics_vector_kernelILi256EPK16rocblas_bfloat16EviT0_lllP24rocblas_check_numerics_s
    .private_segment_fixed_size: 0
    .sgpr_count:     20
    .sgpr_spill_count: 0
    .symbol:         _ZL36rocblas_check_numerics_vector_kernelILi256EPK16rocblas_bfloat16EviT0_lllP24rocblas_check_numerics_s.kd
    .uniform_work_group_size: 1
    .uses_dynamic_stack: false
    .vgpr_count:     6
    .vgpr_spill_count: 0
    .wavefront_size: 64
  - .args:
      - .offset:         0
        .size:           4
        .value_kind:     by_value
      - .address_space:  global
        .offset:         8
        .size:           8
        .value_kind:     global_buffer
      - .offset:         16
        .size:           8
        .value_kind:     by_value
      - .offset:         24
        .size:           8
        .value_kind:     by_value
      - .offset:         32
        .size:           8
        .value_kind:     by_value
      - .address_space:  global
        .offset:         40
        .size:           8
        .value_kind:     global_buffer
      - .offset:         48
        .size:           4
        .value_kind:     hidden_block_count_x
      - .offset:         52
        .size:           4
        .value_kind:     hidden_block_count_y
      - .offset:         56
        .size:           4
        .value_kind:     hidden_block_count_z
      - .offset:         60
        .size:           2
        .value_kind:     hidden_group_size_x
      - .offset:         62
        .size:           2
        .value_kind:     hidden_group_size_y
      - .offset:         64
        .size:           2
        .value_kind:     hidden_group_size_z
      - .offset:         66
        .size:           2
        .value_kind:     hidden_remainder_x
      - .offset:         68
        .size:           2
        .value_kind:     hidden_remainder_y
      - .offset:         70
        .size:           2
        .value_kind:     hidden_remainder_z
      - .offset:         88
        .size:           8
        .value_kind:     hidden_global_offset_x
      - .offset:         96
        .size:           8
        .value_kind:     hidden_global_offset_y
      - .offset:         104
        .size:           8
        .value_kind:     hidden_global_offset_z
      - .offset:         112
        .size:           2
        .value_kind:     hidden_grid_dims
    .group_segment_fixed_size: 0
    .kernarg_segment_align: 8
    .kernarg_segment_size: 304
    .language:       OpenCL C
    .language_version:
      - 2
      - 0
    .max_flat_workgroup_size: 256
    .name:           _ZL36rocblas_check_numerics_vector_kernelILi256EPKPK16rocblas_bfloat16EviT0_lllP24rocblas_check_numerics_s
    .private_segment_fixed_size: 0
    .sgpr_count:     16
    .sgpr_spill_count: 0
    .symbol:         _ZL36rocblas_check_numerics_vector_kernelILi256EPKPK16rocblas_bfloat16EviT0_lllP24rocblas_check_numerics_s.kd
    .uniform_work_group_size: 1
    .uses_dynamic_stack: false
    .vgpr_count:     6
    .vgpr_spill_count: 0
    .wavefront_size: 64
amdhsa.target:   amdgcn-amd-amdhsa--gfx906
amdhsa.version:
  - 1
  - 2
...

	.end_amdgpu_metadata
